;; amdgpu-corpus repo=ROCm/rocFFT kind=compiled arch=gfx1030 opt=O3
	.text
	.amdgcn_target "amdgcn-amd-amdhsa--gfx1030"
	.amdhsa_code_object_version 6
	.protected	bluestein_single_back_len1440_dim1_half_op_CI_CI ; -- Begin function bluestein_single_back_len1440_dim1_half_op_CI_CI
	.globl	bluestein_single_back_len1440_dim1_half_op_CI_CI
	.p2align	8
	.type	bluestein_single_back_len1440_dim1_half_op_CI_CI,@function
bluestein_single_back_len1440_dim1_half_op_CI_CI: ; @bluestein_single_back_len1440_dim1_half_op_CI_CI
; %bb.0:
	s_load_dwordx4 s[12:15], s[4:5], 0x28
	v_mul_u32_u24_e32 v1, 0x2d9, v0
	v_mov_b32_e32 v22, 0
	s_mov_b32 s0, exec_lo
	v_lshrrev_b32_e32 v1, 16, v1
	v_add_nc_u32_e32 v21, s6, v1
	s_waitcnt lgkmcnt(0)
	v_cmpx_gt_u64_e64 s[12:13], v[21:22]
	s_cbranch_execz .LBB0_31
; %bb.1:
	s_clause 0x1
	s_load_dwordx4 s[8:11], s[4:5], 0x18
	s_load_dwordx2 s[6:7], s[4:5], 0x0
	v_mul_lo_u16 v1, 0x5a, v1
	v_sub_nc_u16 v12, v0, v1
	v_and_b32_e32 v22, 0xffff, v12
	v_or_b32_e32 v69, 0x480, v22
	v_lshlrev_b32_e32 v68, 2, v22
	s_waitcnt lgkmcnt(0)
	s_load_dwordx4 s[0:3], s[8:9], 0x0
	s_clause 0x1
	global_load_dword v78, v68, s[6:7]
	global_load_dword v77, v68, s[6:7] offset:576
	v_add_co_u32 v19, s8, s6, v68
	v_add_co_ci_u32_e64 v20, null, s7, 0, s8
	v_lshlrev_b32_e32 v66, 2, v69
	v_add_co_u32 v17, vcc_lo, 0x800, v19
	v_add_co_ci_u32_e32 v18, vcc_lo, 0, v20, vcc_lo
	v_add_co_u32 v15, vcc_lo, 0x1000, v19
	v_add_co_ci_u32_e32 v16, vcc_lo, 0, v20, vcc_lo
	s_clause 0x5
	global_load_dword v74, v[17:18], off offset:832
	global_load_dword v73, v[17:18], off offset:1408
	;; [unrolled: 1-line block ×4, first 2 shown]
	global_load_dword v71, v66, s[6:7]
	global_load_dword v79, v68, s[6:7] offset:1152
	s_waitcnt lgkmcnt(0)
	v_mad_u64_u32 v[0:1], null, s2, v21, 0
	v_mad_u64_u32 v[2:3], null, s0, v22, 0
	;; [unrolled: 1-line block ×3, first 2 shown]
	s_mul_hi_u32 s8, s0, 0x90
	s_mul_i32 s2, s0, 0x90
	v_mad_u64_u32 v[6:7], null, s3, v21, v[1:2]
	v_mad_u64_u32 v[7:8], null, s1, v22, v[3:4]
	s_mul_i32 s3, s1, 0x90
	s_add_i32 s3, s8, s3
	s_mov_b32 s8, 0
	v_mov_b32_e32 v1, v6
	v_mad_u64_u32 v[5:6], null, s1, v69, v[5:6]
	v_mov_b32_e32 v3, v7
	s_lshl_b64 s[12:13], s[2:3], 2
	v_lshlrev_b64 v[0:1], 2, v[0:1]
	s_load_dwordx2 s[2:3], s[4:5], 0x38
	v_mov_b32_e32 v23, s8
	v_lshlrev_b64 v[2:3], 2, v[2:3]
	v_lshlrev_b64 v[4:5], 2, v[4:5]
	v_add_co_u32 v8, vcc_lo, s14, v0
	v_add_co_ci_u32_e32 v9, vcc_lo, s15, v1, vcc_lo
	v_add_co_u32 v0, vcc_lo, v8, v2
	v_add_co_ci_u32_e32 v1, vcc_lo, v9, v3, vcc_lo
	;; [unrolled: 2-line block ×3, first 2 shown]
	global_load_dword v13, v[0:1], off
	v_add_co_u32 v6, vcc_lo, v2, s12
	v_add_co_ci_u32_e32 v7, vcc_lo, s13, v3, vcc_lo
	v_add_co_u32 v4, vcc_lo, v8, v4
	v_add_co_ci_u32_e32 v5, vcc_lo, v9, v5, vcc_lo
	v_add_co_u32 v8, vcc_lo, v6, s12
	v_add_co_ci_u32_e32 v9, vcc_lo, s13, v7, vcc_lo
	s_clause 0x1
	global_load_dword v14, v[4:5], off
	global_load_dword v25, v[6:7], off
	v_add_co_u32 v10, vcc_lo, v8, s12
	v_add_co_ci_u32_e32 v11, vcc_lo, s13, v9, vcc_lo
	global_load_dword v24, v[2:3], off
	v_add_co_u32 v4, vcc_lo, v10, s12
	v_add_co_ci_u32_e32 v5, vcc_lo, s13, v11, vcc_lo
	global_load_dword v26, v[8:9], off
	global_load_dword v76, v68, s[6:7] offset:1728
	global_load_dword v10, v[10:11], off
	global_load_dword v75, v[17:18], off offset:256
	v_add_co_u32 v2, vcc_lo, v4, s12
	v_add_co_ci_u32_e32 v3, vcc_lo, s13, v5, vcc_lo
	v_add_co_u32 v6, vcc_lo, v2, s12
	v_add_co_ci_u32_e32 v7, vcc_lo, s13, v3, vcc_lo
	v_cmp_gt_u16_e32 vcc_lo, 54, v12
	v_mad_u64_u32 v[0:1], null, 0x480, s0, v[6:7]
	v_mad_u64_u32 v[8:9], null, 0x480, s1, v[1:2]
	global_load_dword v5, v[4:5], off
	global_load_dword v9, v[2:3], off
	v_add_nc_u32_e32 v4, 0x400, v68
	v_add_nc_u32_e32 v2, 0x800, v68
	;; [unrolled: 1-line block ×3, first 2 shown]
	v_mov_b32_e32 v1, v8
	global_load_dword v6, v[6:7], off
	global_load_dword v7, v[0:1], off
	s_load_dwordx4 s[8:11], s[10:11], 0x0
	s_waitcnt vmcnt(11)
	v_lshrrev_b32_e32 v8, 16, v13
	v_mul_f16_sdwa v11, v78, v13 dst_sel:DWORD dst_unused:UNUSED_PAD src0_sel:WORD_1 src1_sel:DWORD
	v_mul_f16_sdwa v29, v78, v8 dst_sel:DWORD dst_unused:UNUSED_PAD src0_sel:WORD_1 src1_sel:DWORD
	v_fma_f16 v8, v78, v8, -v11
	v_fmac_f16_e32 v29, v78, v13
	s_waitcnt vmcnt(10)
	v_lshrrev_b32_e32 v27, 16, v14
	v_mul_f16_sdwa v28, v71, v14 dst_sel:DWORD dst_unused:UNUSED_PAD src0_sel:WORD_1 src1_sel:DWORD
	v_pack_b32_f16 v8, v29, v8
	v_mul_f16_sdwa v31, v71, v27 dst_sel:DWORD dst_unused:UNUSED_PAD src0_sel:WORD_1 src1_sel:DWORD
	s_waitcnt vmcnt(8)
	v_lshrrev_b32_e32 v11, 16, v24
	v_mul_f16_sdwa v30, v77, v24 dst_sel:DWORD dst_unused:UNUSED_PAD src0_sel:WORD_1 src1_sel:DWORD
	v_fma_f16 v27, v71, v27, -v28
	v_lshrrev_b32_e32 v28, 16, v25
	v_fmac_f16_e32 v31, v71, v14
	v_mul_f16_sdwa v13, v77, v11 dst_sel:DWORD dst_unused:UNUSED_PAD src0_sel:WORD_1 src1_sel:DWORD
	v_fma_f16 v11, v77, v11, -v30
	v_mul_f16_sdwa v30, v79, v25 dst_sel:DWORD dst_unused:UNUSED_PAD src0_sel:WORD_1 src1_sel:DWORD
	v_mul_f16_sdwa v14, v79, v28 dst_sel:DWORD dst_unused:UNUSED_PAD src0_sel:WORD_1 src1_sel:DWORD
	s_waitcnt vmcnt(6)
	v_mul_f16_sdwa v29, v76, v26 dst_sel:DWORD dst_unused:UNUSED_PAD src0_sel:WORD_1 src1_sel:DWORD
	v_fmac_f16_e32 v13, v77, v24
	v_pack_b32_f16 v27, v31, v27
	v_fma_f16 v24, v79, v28, -v30
	v_lshrrev_b32_e32 v28, 16, v26
	v_fmac_f16_e32 v14, v79, v25
	v_pack_b32_f16 v11, v13, v11
	v_mul_f16_sdwa v13, v76, v28 dst_sel:DWORD dst_unused:UNUSED_PAD src0_sel:WORD_1 src1_sel:DWORD
	v_fma_f16 v25, v76, v28, -v29
	s_waitcnt vmcnt(5)
	v_lshrrev_b32_e32 v28, 16, v10
	ds_write2_b32 v68, v8, v11 offset1:144
	v_pack_b32_f16 v8, v14, v24
	v_fmac_f16_e32 v13, v76, v26
	s_waitcnt vmcnt(4)
	v_mul_f16_sdwa v29, v75, v10 dst_sel:DWORD dst_unused:UNUSED_PAD src0_sel:WORD_1 src1_sel:DWORD
	v_mul_f16_sdwa v14, v75, v28 dst_sel:DWORD dst_unused:UNUSED_PAD src0_sel:WORD_1 src1_sel:DWORD
	s_waitcnt vmcnt(3)
	v_lshrrev_b32_e32 v11, 16, v5
	v_mul_f16_sdwa v26, v74, v5 dst_sel:DWORD dst_unused:UNUSED_PAD src0_sel:WORD_1 src1_sel:DWORD
	v_pack_b32_f16 v13, v13, v25
	v_fmac_f16_e32 v14, v75, v10
	s_waitcnt vmcnt(2)
	v_lshrrev_b32_e32 v10, 16, v9
	v_mul_f16_sdwa v25, v74, v11 dst_sel:DWORD dst_unused:UNUSED_PAD src0_sel:WORD_1 src1_sel:DWORD
	v_fma_f16 v11, v74, v11, -v26
	v_mul_f16_sdwa v26, v73, v9 dst_sel:DWORD dst_unused:UNUSED_PAD src0_sel:WORD_1 src1_sel:DWORD
	v_fma_f16 v24, v75, v28, -v29
	v_mul_f16_sdwa v28, v73, v10 dst_sel:DWORD dst_unused:UNUSED_PAD src0_sel:WORD_1 src1_sel:DWORD
	v_fmac_f16_e32 v25, v74, v5
	s_waitcnt vmcnt(1)
	v_lshrrev_b32_e32 v5, 16, v6
	s_waitcnt vmcnt(0)
	v_lshrrev_b32_e32 v29, 16, v7
	v_fma_f16 v10, v73, v10, -v26
	v_mul_f16_sdwa v26, v72, v6 dst_sel:DWORD dst_unused:UNUSED_PAD src0_sel:WORD_1 src1_sel:DWORD
	v_mul_f16_sdwa v31, v70, v7 dst_sel:DWORD dst_unused:UNUSED_PAD src0_sel:WORD_1 src1_sel:DWORD
	;; [unrolled: 1-line block ×4, first 2 shown]
	v_fmac_f16_e32 v28, v73, v9
	v_fma_f16 v5, v72, v5, -v26
	v_pack_b32_f16 v9, v25, v11
	v_fmac_f16_e32 v30, v72, v6
	v_fma_f16 v6, v70, v29, -v31
	v_fmac_f16_e32 v32, v70, v7
	v_pack_b32_f16 v7, v14, v24
	v_pack_b32_f16 v10, v28, v10
	;; [unrolled: 1-line block ×3, first 2 shown]
	v_add_nc_u32_e32 v5, 0x1200, v68
	v_pack_b32_f16 v6, v32, v6
	ds_write2_b32 v4, v8, v13 offset0:32 offset1:176
	ds_write2_b32 v2, v7, v9 offset0:64 offset1:208
	;; [unrolled: 1-line block ×3, first 2 shown]
	ds_write2_b32 v5, v27, v6 offset1:144
	s_and_saveexec_b32 s14, vcc_lo
	s_cbranch_execz .LBB0_3
; %bb.2:
	v_mad_u64_u32 v[0:1], null, 0xffffed28, s0, v[0:1]
	s_mulk_i32 s1, 0xed28
	global_load_dword v8, v[19:20], off offset:360
	s_sub_i32 s0, s1, s0
	v_add_nc_u32_e32 v34, 0x500, v68
	v_add_nc_u32_e32 v38, 0xa00, v68
	;; [unrolled: 1-line block ×3, first 2 shown]
	v_add_co_u32 v6, s0, v0, s12
	v_add_co_ci_u32_e64 v7, s0, s13, v1, s0
	global_load_dword v9, v[0:1], off
	v_add_co_u32 v0, s0, v6, s12
	v_add_co_ci_u32_e64 v1, s0, s13, v7, s0
	global_load_dword v10, v[6:7], off
	v_add_co_u32 v6, s0, v0, s12
	v_add_co_ci_u32_e64 v7, s0, s13, v1, s0
	s_clause 0x1
	global_load_dword v11, v[19:20], off offset:936
	global_load_dword v12, v[19:20], off offset:1512
	global_load_dword v13, v[0:1], off
	global_load_dword v14, v[6:7], off
	v_add_co_u32 v0, s0, v6, s12
	v_add_co_ci_u32_e64 v1, s0, s13, v7, s0
	s_clause 0x3
	global_load_dword v24, v[17:18], off offset:40
	global_load_dword v25, v[17:18], off offset:616
	;; [unrolled: 1-line block ×4, first 2 shown]
	v_add_co_u32 v6, s0, v0, s12
	v_add_co_ci_u32_e64 v7, s0, s13, v1, s0
	global_load_dword v28, v[0:1], off
	v_add_co_u32 v0, s0, v6, s12
	v_add_co_ci_u32_e64 v1, s0, s13, v7, s0
	global_load_dword v29, v[6:7], off
	v_add_co_u32 v6, s0, v0, s12
	v_add_co_ci_u32_e64 v7, s0, s13, v1, s0
	global_load_dword v30, v[0:1], off
	v_add_co_u32 v0, s0, v6, s12
	v_add_co_ci_u32_e64 v1, s0, s13, v7, s0
	global_load_dword v31, v[6:7], off
	v_add_co_u32 v6, s0, v0, s12
	v_add_co_ci_u32_e64 v7, s0, s13, v1, s0
	global_load_dword v32, v[15:16], off offset:296
	global_load_dword v0, v[0:1], off
	global_load_dword v1, v[6:7], off
	s_clause 0x1
	global_load_dword v6, v[15:16], off offset:872
	global_load_dword v7, v[15:16], off offset:1448
	s_waitcnt vmcnt(18)
	v_lshrrev_b32_e32 v33, 16, v9
	v_mul_f16_sdwa v35, v8, v9 dst_sel:DWORD dst_unused:UNUSED_PAD src0_sel:WORD_1 src1_sel:DWORD
	v_mul_f16_sdwa v36, v8, v33 dst_sel:DWORD dst_unused:UNUSED_PAD src0_sel:WORD_1 src1_sel:DWORD
	s_waitcnt vmcnt(17)
	v_lshrrev_b32_e32 v37, 16, v10
	s_waitcnt vmcnt(16)
	v_mul_f16_sdwa v39, v11, v10 dst_sel:DWORD dst_unused:UNUSED_PAD src0_sel:WORD_1 src1_sel:DWORD
	v_fma_f16 v33, v8, v33, -v35
	v_fmac_f16_e32 v36, v8, v9
	v_mul_f16_sdwa v8, v11, v37 dst_sel:DWORD dst_unused:UNUSED_PAD src0_sel:WORD_1 src1_sel:DWORD
	s_waitcnt vmcnt(14)
	v_lshrrev_b32_e32 v9, 16, v13
	v_fma_f16 v35, v11, v37, -v39
	v_mul_f16_sdwa v37, v12, v13 dst_sel:DWORD dst_unused:UNUSED_PAD src0_sel:WORD_1 src1_sel:DWORD
	v_pack_b32_f16 v33, v36, v33
	v_fmac_f16_e32 v8, v11, v10
	v_mul_f16_sdwa v10, v12, v9 dst_sel:DWORD dst_unused:UNUSED_PAD src0_sel:WORD_1 src1_sel:DWORD
	s_waitcnt vmcnt(13)
	v_lshrrev_b32_e32 v11, 16, v14
	v_fma_f16 v9, v12, v9, -v37
	s_waitcnt vmcnt(12)
	v_mul_f16_sdwa v36, v24, v14 dst_sel:DWORD dst_unused:UNUSED_PAD src0_sel:WORD_1 src1_sel:DWORD
	v_pack_b32_f16 v8, v8, v35
	v_fmac_f16_e32 v10, v12, v13
	v_mul_f16_sdwa v12, v24, v11 dst_sel:DWORD dst_unused:UNUSED_PAD src0_sel:WORD_1 src1_sel:DWORD
	s_waitcnt vmcnt(8)
	v_lshrrev_b32_e32 v13, 16, v28
	v_fma_f16 v11, v24, v11, -v36
	v_mul_f16_sdwa v35, v25, v28 dst_sel:DWORD dst_unused:UNUSED_PAD src0_sel:WORD_1 src1_sel:DWORD
	v_pack_b32_f16 v9, v10, v9
	v_fmac_f16_e32 v12, v24, v14
	v_mul_f16_sdwa v10, v25, v13 dst_sel:DWORD dst_unused:UNUSED_PAD src0_sel:WORD_1 src1_sel:DWORD
	s_waitcnt vmcnt(7)
	v_lshrrev_b32_e32 v14, 16, v29
	v_fma_f16 v13, v25, v13, -v35
	v_mul_f16_sdwa v24, v26, v29 dst_sel:DWORD dst_unused:UNUSED_PAD src0_sel:WORD_1 src1_sel:DWORD
	v_pack_b32_f16 v11, v12, v11
	v_fmac_f16_e32 v10, v25, v28
	v_mul_f16_sdwa v12, v26, v14 dst_sel:DWORD dst_unused:UNUSED_PAD src0_sel:WORD_1 src1_sel:DWORD
	s_waitcnt vmcnt(6)
	v_lshrrev_b32_e32 v25, 16, v30
	v_mul_f16_sdwa v28, v27, v30 dst_sel:DWORD dst_unused:UNUSED_PAD src0_sel:WORD_1 src1_sel:DWORD
	v_fma_f16 v14, v26, v14, -v24
	v_pack_b32_f16 v10, v10, v13
	v_fmac_f16_e32 v12, v26, v29
	v_mul_f16_sdwa v13, v27, v25 dst_sel:DWORD dst_unused:UNUSED_PAD src0_sel:WORD_1 src1_sel:DWORD
	v_fma_f16 v24, v27, v25, -v28
	s_waitcnt vmcnt(5)
	v_lshrrev_b32_e32 v25, 16, v31
	s_waitcnt vmcnt(4)
	v_mul_f16_sdwa v26, v32, v31 dst_sel:DWORD dst_unused:UNUSED_PAD src0_sel:WORD_1 src1_sel:DWORD
	v_pack_b32_f16 v12, v12, v14
	v_fmac_f16_e32 v13, v27, v30
	s_waitcnt vmcnt(3)
	v_lshrrev_b32_e32 v14, 16, v0
	s_waitcnt vmcnt(2)
	v_lshrrev_b32_e32 v27, 16, v1
	v_mul_f16_sdwa v28, v32, v25 dst_sel:DWORD dst_unused:UNUSED_PAD src0_sel:WORD_1 src1_sel:DWORD
	v_fma_f16 v25, v32, v25, -v26
	s_waitcnt vmcnt(1)
	v_mul_f16_sdwa v26, v6, v0 dst_sel:DWORD dst_unused:UNUSED_PAD src0_sel:WORD_1 src1_sel:DWORD
	v_mul_f16_sdwa v29, v6, v14 dst_sel:DWORD dst_unused:UNUSED_PAD src0_sel:WORD_1 src1_sel:DWORD
	s_waitcnt vmcnt(0)
	v_mul_f16_sdwa v30, v7, v27 dst_sel:DWORD dst_unused:UNUSED_PAD src0_sel:WORD_1 src1_sel:DWORD
	v_mul_f16_sdwa v35, v7, v1 dst_sel:DWORD dst_unused:UNUSED_PAD src0_sel:WORD_1 src1_sel:DWORD
	v_fmac_f16_e32 v28, v32, v31
	v_fma_f16 v14, v6, v14, -v26
	v_fmac_f16_e32 v29, v6, v0
	v_fmac_f16_e32 v30, v7, v1
	v_fma_f16 v0, v7, v27, -v35
	v_pack_b32_f16 v1, v13, v24
	v_pack_b32_f16 v6, v28, v25
	v_add_nc_u32_e32 v7, 0xe00, v68
	v_pack_b32_f16 v13, v29, v14
	v_pack_b32_f16 v0, v30, v0
	ds_write2_b32 v68, v33, v8 offset0:90 offset1:234
	ds_write2_b32 v34, v9, v11 offset0:58 offset1:202
	;; [unrolled: 1-line block ×5, first 2 shown]
.LBB0_3:
	s_or_b32 exec_lo, exec_lo, s14
	s_waitcnt lgkmcnt(0)
	s_barrier
	buffer_gl0_inv
	ds_read2_b32 v[29:30], v68 offset1:144
	ds_read2_b32 v[27:28], v4 offset0:32 offset1:176
	ds_read2_b32 v[25:26], v2 offset0:64 offset1:208
	ds_read2_b32 v[12:13], v3 offset0:96 offset1:240
	ds_read2_b32 v[10:11], v5 offset1:144
                                        ; implicit-def: $vgpr1
                                        ; implicit-def: $vgpr3
                                        ; implicit-def: $vgpr5
                                        ; implicit-def: $vgpr9
                                        ; implicit-def: $vgpr7
	s_and_saveexec_b32 s0, vcc_lo
	s_cbranch_execz .LBB0_5
; %bb.4:
	v_add_nc_u32_e32 v0, 0x500, v68
	v_add_nc_u32_e32 v1, 0xa00, v68
	;; [unrolled: 1-line block ×4, first 2 shown]
	ds_read2_b32 v[6:7], v68 offset0:90 offset1:234
	ds_read2_b32 v[8:9], v0 offset0:58 offset1:202
	;; [unrolled: 1-line block ×5, first 2 shown]
.LBB0_5:
	s_or_b32 exec_lo, exec_lo, s0
	s_waitcnt lgkmcnt(1)
	v_add_f16_e32 v14, v25, v12
	s_waitcnt lgkmcnt(0)
	v_add_f16_e32 v34, v27, v10
	v_sub_f16_sdwa v24, v27, v10 dst_sel:DWORD dst_unused:UNUSED_PAD src0_sel:WORD_1 src1_sel:WORD_1
	v_sub_f16_sdwa v31, v25, v12 dst_sel:DWORD dst_unused:UNUSED_PAD src0_sel:WORD_1 src1_sel:WORD_1
	v_sub_f16_e32 v33, v27, v25
	v_fma_f16 v32, -0.5, v14, v29
	v_fma_f16 v34, -0.5, v34, v29
	v_sub_f16_e32 v14, v10, v12
	v_add_f16_sdwa v35, v25, v12 dst_sel:DWORD dst_unused:UNUSED_PAD src0_sel:WORD_1 src1_sel:WORD_1
	v_lshrrev_b32_e32 v37, 16, v29
	v_fmamk_f16 v36, v24, 0x3b9c, v32
	v_fmac_f16_e32 v32, 0xbb9c, v24
	v_pk_add_f16 v43, v29, v27
	v_fmamk_f16 v29, v31, 0xbb9c, v34
	v_fmac_f16_e32 v34, 0x3b9c, v31
	v_add_f16_e32 v14, v33, v14
	v_fmac_f16_e32 v36, 0x38b4, v31
	v_fmac_f16_e32 v32, 0xb8b4, v31
	v_fma_f16 v33, -0.5, v35, v37
	v_fmac_f16_e32 v29, 0x38b4, v24
	v_sub_f16_e32 v35, v12, v10
	v_sub_f16_e32 v38, v25, v27
	v_fmac_f16_e32 v34, 0xb8b4, v24
	v_add_f16_sdwa v24, v27, v10 dst_sel:DWORD dst_unused:UNUSED_PAD src0_sel:WORD_1 src1_sel:WORD_1
	v_fmac_f16_e32 v36, 0x34f2, v14
	v_fmac_f16_e32 v32, 0x34f2, v14
	v_sub_f16_e32 v14, v27, v10
	v_sub_f16_e32 v39, v25, v12
	v_sub_f16_sdwa v40, v27, v25 dst_sel:DWORD dst_unused:UNUSED_PAD src0_sel:WORD_1 src1_sel:WORD_1
	v_sub_f16_sdwa v41, v10, v12 dst_sel:DWORD dst_unused:UNUSED_PAD src0_sel:WORD_1 src1_sel:WORD_1
	v_add_f16_e32 v35, v38, v35
	v_fmac_f16_e32 v37, -0.5, v24
	v_fmamk_f16 v31, v14, 0xbb9c, v33
	v_fmac_f16_e32 v33, 0x3b9c, v14
	v_add_f16_e32 v38, v40, v41
	v_fmac_f16_e32 v29, 0x34f2, v35
	v_fmac_f16_e32 v34, 0x34f2, v35
	v_add_f16_e32 v24, v26, v13
	v_fmamk_f16 v35, v39, 0x3b9c, v37
	v_sub_f16_sdwa v27, v25, v27 dst_sel:DWORD dst_unused:UNUSED_PAD src0_sel:WORD_1 src1_sel:WORD_1
	v_sub_f16_sdwa v40, v12, v10 dst_sel:DWORD dst_unused:UNUSED_PAD src0_sel:WORD_1 src1_sel:WORD_1
	v_fmac_f16_e32 v37, 0xbb9c, v39
	v_fmac_f16_e32 v31, 0xb8b4, v39
	;; [unrolled: 1-line block ×3, first 2 shown]
	v_fma_f16 v24, -0.5, v24, v30
	v_sub_f16_sdwa v41, v28, v11 dst_sel:DWORD dst_unused:UNUSED_PAD src0_sel:WORD_1 src1_sel:WORD_1
	v_fmac_f16_e32 v35, 0xb8b4, v14
	v_add_f16_e32 v27, v27, v40
	v_add_f16_e32 v39, v28, v11
	v_sub_f16_e32 v42, v11, v13
	v_sub_f16_e32 v44, v28, v26
	v_fmac_f16_e32 v37, 0x38b4, v14
	v_fmac_f16_e32 v31, 0x34f2, v38
	;; [unrolled: 1-line block ×3, first 2 shown]
	v_fmamk_f16 v38, v41, 0x3b9c, v24
	v_sub_f16_sdwa v40, v26, v13 dst_sel:DWORD dst_unused:UNUSED_PAD src0_sel:WORD_1 src1_sel:WORD_1
	v_fmac_f16_e32 v35, 0x34f2, v27
	v_fma_f16 v39, -0.5, v39, v30
	v_add_f16_e32 v14, v44, v42
	v_fmac_f16_e32 v24, 0xbb9c, v41
	v_fmac_f16_e32 v37, 0x34f2, v27
	v_pk_add_f16 v44, v30, v28
	v_add_f16_sdwa v27, v26, v13 dst_sel:DWORD dst_unused:UNUSED_PAD src0_sel:WORD_1 src1_sel:WORD_1
	v_lshrrev_b32_e32 v30, 16, v30
	v_add_f16_sdwa v47, v28, v11 dst_sel:DWORD dst_unused:UNUSED_PAD src0_sel:WORD_1 src1_sel:WORD_1
	v_fmac_f16_e32 v38, 0x38b4, v40
	v_fmamk_f16 v42, v40, 0xbb9c, v39
	v_fmac_f16_e32 v24, 0xb8b4, v40
	v_sub_f16_e32 v45, v13, v11
	v_sub_f16_e32 v46, v26, v28
	v_fmac_f16_e32 v39, 0x3b9c, v40
	v_fma_f16 v27, -0.5, v27, v30
	v_sub_f16_e32 v40, v28, v11
	v_sub_f16_e32 v48, v26, v13
	v_fmac_f16_e32 v30, -0.5, v47
	v_fmac_f16_e32 v42, 0x38b4, v41
	v_add_f16_e32 v45, v46, v45
	v_fmac_f16_e32 v39, 0xb8b4, v41
	v_fmamk_f16 v41, v40, 0xbb9c, v27
	v_sub_f16_sdwa v46, v28, v26 dst_sel:DWORD dst_unused:UNUSED_PAD src0_sel:WORD_1 src1_sel:WORD_1
	v_fmamk_f16 v47, v48, 0x3b9c, v30
	v_sub_f16_sdwa v28, v26, v28 dst_sel:DWORD dst_unused:UNUSED_PAD src0_sel:WORD_1 src1_sel:WORD_1
	v_sub_f16_sdwa v49, v13, v11 dst_sel:DWORD dst_unused:UNUSED_PAD src0_sel:WORD_1 src1_sel:WORD_1
	;; [unrolled: 1-line block ×3, first 2 shown]
	v_fmac_f16_e32 v30, 0xbb9c, v48
	v_fmac_f16_e32 v27, 0x3b9c, v40
	;; [unrolled: 1-line block ×3, first 2 shown]
	v_add_f16_e32 v28, v28, v49
	v_add_f16_e32 v46, v46, v50
	v_fmac_f16_e32 v30, 0x38b4, v40
	v_fmac_f16_e32 v27, 0x38b4, v48
	;; [unrolled: 1-line block ×8, first 2 shown]
	v_mul_f16_e32 v14, 0x3a79, v24
	v_fmac_f16_e32 v41, 0xb8b4, v48
	v_fmac_f16_e32 v42, 0x34f2, v45
	v_mul_f16_e32 v28, 0x3b9c, v47
	v_mul_f16_e32 v45, 0x34f2, v39
	v_fma_f16 v50, v27, 0x38b4, -v14
	v_mul_f16_e32 v14, 0x34f2, v30
	v_fmac_f16_e32 v41, 0x34f2, v46
	v_mul_f16_e32 v40, 0x3a79, v38
	v_fmac_f16_e32 v28, 0x34f2, v42
	v_fma_f16 v45, v30, 0x3b9c, -v45
	v_mul_f16_e32 v38, 0xb8b4, v38
	v_mul_f16_e32 v42, 0xbb9c, v42
	;; [unrolled: 1-line block ×3, first 2 shown]
	v_fma_f16 v30, v39, 0xbb9c, -v14
	v_add_f16_e32 v14, v2, v4
	v_add_f16_e32 v48, v29, v28
	v_add_f16_e32 v49, v34, v45
	v_fmac_f16_e32 v38, 0x3a79, v41
	v_fmac_f16_e32 v42, 0x34f2, v47
	v_add_f16_e32 v47, v32, v50
	v_fma_f16 v24, v24, 0xb8b4, -v27
	v_sub_f16_e32 v56, v29, v28
	v_fma_f16 v14, -0.5, v14, v6
	v_sub_f16_sdwa v27, v8, v0 dst_sel:DWORD dst_unused:UNUSED_PAD src0_sel:WORD_1 src1_sel:WORD_1
	v_sub_f16_e32 v57, v34, v45
	v_sub_f16_e32 v50, v32, v50
	;; [unrolled: 1-line block ×4, first 2 shown]
	v_add_f16_e32 v34, v0, v8
	v_add_f16_e32 v51, v31, v38
	;; [unrolled: 1-line block ×3, first 2 shown]
	v_sub_f16_e32 v45, v31, v38
	v_sub_f16_e32 v62, v35, v42
	v_fmamk_f16 v28, v27, 0x3b9c, v14
	v_sub_f16_sdwa v31, v4, v2 dst_sel:DWORD dst_unused:UNUSED_PAD src0_sel:WORD_1 src1_sel:WORD_1
	v_fmac_f16_e32 v14, 0xbb9c, v27
	v_add_f16_e32 v35, v32, v29
	v_fma_f16 v29, -0.5, v34, v6
	v_add_f16_e32 v53, v37, v30
	v_sub_f16_e32 v63, v37, v30
	v_fmac_f16_e32 v28, 0x38b4, v31
	v_fmac_f16_e32 v14, 0xb8b4, v31
	v_add_f16_sdwa v34, v2, v4 dst_sel:DWORD dst_unused:UNUSED_PAD src0_sel:WORD_1 src1_sel:WORD_1
	v_lshrrev_b32_e32 v32, 16, v6
	v_fmamk_f16 v30, v31, 0xbb9c, v29
	v_fmac_f16_e32 v29, 0x3b9c, v31
	v_fmac_f16_e32 v40, 0x38b4, v41
	v_add_f16_e32 v54, v33, v24
	v_sub_f16_e32 v64, v33, v24
	v_fmac_f16_e32 v28, 0x34f2, v35
	v_fmac_f16_e32 v14, 0x34f2, v35
	v_fma_f16 v33, -0.5, v34, v32
	v_sub_f16_e32 v24, v8, v0
	v_fmac_f16_e32 v30, 0x38b4, v27
	v_sub_f16_e32 v34, v4, v8
	v_sub_f16_e32 v35, v2, v0
	v_fmac_f16_e32 v29, 0xb8b4, v27
	v_add_f16_sdwa v27, v0, v8 dst_sel:DWORD dst_unused:UNUSED_PAD src0_sel:WORD_1 src1_sel:WORD_1
	v_add_f16_e32 v46, v36, v40
	v_sub_f16_e32 v55, v36, v40
	v_fmamk_f16 v31, v24, 0xbb9c, v33
	v_sub_f16_e32 v36, v4, v2
	v_sub_f16_sdwa v37, v8, v4 dst_sel:DWORD dst_unused:UNUSED_PAD src0_sel:WORD_1 src1_sel:WORD_1
	v_sub_f16_sdwa v38, v0, v2 dst_sel:DWORD dst_unused:UNUSED_PAD src0_sel:WORD_1 src1_sel:WORD_1
	v_add_f16_e32 v34, v35, v34
	v_fmac_f16_e32 v33, 0x3b9c, v24
	v_fmac_f16_e32 v32, -0.5, v27
	v_fmac_f16_e32 v31, 0xb8b4, v36
	v_add_f16_e32 v35, v38, v37
	v_fmac_f16_e32 v30, 0x34f2, v34
	v_fmac_f16_e32 v29, 0x34f2, v34
	;; [unrolled: 1-line block ×3, first 2 shown]
	v_fmamk_f16 v34, v36, 0x3b9c, v32
	v_sub_f16_sdwa v37, v4, v8 dst_sel:DWORD dst_unused:UNUSED_PAD src0_sel:WORD_1 src1_sel:WORD_1
	v_sub_f16_sdwa v38, v2, v0 dst_sel:DWORD dst_unused:UNUSED_PAD src0_sel:WORD_1 src1_sel:WORD_1
	v_fmac_f16_e32 v32, 0xbb9c, v36
	v_fmac_f16_e32 v31, 0x34f2, v35
	v_add_f16_e32 v27, v3, v5
	v_fmac_f16_e32 v33, 0x34f2, v35
	v_fmac_f16_e32 v34, 0xb8b4, v24
	v_add_f16_e32 v35, v38, v37
	v_fmac_f16_e32 v32, 0x38b4, v24
	v_add_f16_e32 v36, v1, v9
	v_fma_f16 v42, -0.5, v27, v7
	v_sub_f16_sdwa v27, v9, v1 dst_sel:DWORD dst_unused:UNUSED_PAD src0_sel:WORD_1 src1_sel:WORD_1
	v_fmac_f16_e32 v34, 0x34f2, v35
	v_fmac_f16_e32 v32, 0x34f2, v35
	v_fma_f16 v41, -0.5, v36, v7
	v_sub_f16_e32 v35, v5, v9
	v_sub_f16_e32 v36, v3, v1
	v_fmamk_f16 v24, v27, 0x3b9c, v42
	v_sub_f16_sdwa v37, v5, v3 dst_sel:DWORD dst_unused:UNUSED_PAD src0_sel:WORD_1 src1_sel:WORD_1
	v_sub_f16_e32 v38, v9, v5
	v_sub_f16_e32 v39, v1, v3
	v_fmac_f16_e32 v42, 0xbb9c, v27
	v_add_f16_sdwa v40, v3, v5 dst_sel:DWORD dst_unused:UNUSED_PAD src0_sel:WORD_1 src1_sel:WORD_1
	v_lshrrev_b32_e32 v58, 16, v7
	v_add_f16_e32 v35, v36, v35
	v_add_f16_sdwa v36, v1, v9 dst_sel:DWORD dst_unused:UNUSED_PAD src0_sel:WORD_1 src1_sel:WORD_1
	v_fmac_f16_e32 v24, 0x38b4, v37
	v_add_f16_e32 v38, v39, v38
	v_fmamk_f16 v39, v37, 0xbb9c, v41
	v_fmac_f16_e32 v42, 0xb8b4, v37
	v_fmac_f16_e32 v41, 0x3b9c, v37
	v_fma_f16 v40, -0.5, v40, v58
	v_sub_f16_e32 v37, v9, v1
	v_sub_f16_e32 v59, v5, v3
	v_sub_f16_sdwa v60, v9, v5 dst_sel:DWORD dst_unused:UNUSED_PAD src0_sel:WORD_1 src1_sel:WORD_1
	v_sub_f16_sdwa v61, v1, v3 dst_sel:DWORD dst_unused:UNUSED_PAD src0_sel:WORD_1 src1_sel:WORD_1
	v_fmac_f16_e32 v58, -0.5, v36
	v_sub_f16_sdwa v36, v5, v9 dst_sel:DWORD dst_unused:UNUSED_PAD src0_sel:WORD_1 src1_sel:WORD_1
	v_sub_f16_sdwa v65, v3, v1 dst_sel:DWORD dst_unused:UNUSED_PAD src0_sel:WORD_1 src1_sel:WORD_1
	v_fmamk_f16 v80, v37, 0xbb9c, v40
	v_add_f16_e32 v60, v61, v60
	v_fmamk_f16 v61, v59, 0x3b9c, v58
	v_fmac_f16_e32 v41, 0xb8b4, v27
	v_add_f16_e32 v36, v65, v36
	v_fmac_f16_e32 v58, 0xbb9c, v59
	v_fmac_f16_e32 v80, 0xb8b4, v59
	;; [unrolled: 1-line block ×10, first 2 shown]
	s_load_dwordx2 s[4:5], s[4:5], 0x8
	v_fmac_f16_e32 v24, 0x34f2, v38
	v_fmac_f16_e32 v39, 0x34f2, v35
	;; [unrolled: 1-line block ×3, first 2 shown]
	v_mul_f16_e32 v35, 0x38b4, v80
	v_mul_f16_e32 v36, 0x3b9c, v61
	;; [unrolled: 1-line block ×3, first 2 shown]
	v_fmac_f16_e32 v42, 0x34f2, v38
	v_fmac_f16_e32 v40, 0x34f2, v60
	v_pk_add_f16 v43, v43, v25
	v_pk_add_f16 v26, v44, v26
	v_fmac_f16_e32 v35, 0x3a79, v24
	v_fmac_f16_e32 v36, 0x34f2, v39
	v_fma_f16 v37, v58, 0x3b9c, -v37
	v_mul_f16_e32 v59, 0x3a79, v42
	v_mul_f16_e32 v38, 0xb8b4, v24
	v_mul_f16_e32 v39, 0xbb9c, v39
	v_mul_f16_e32 v24, 0x34f2, v58
	v_mul_f16_e32 v58, 0x3a79, v40
	v_pk_add_f16 v12, v43, v12
	v_pk_add_f16 v13, v26, v13
	v_add_co_u32 v67, s0, 0x5a, v22
	v_fma_f16 v40, v40, 0x38b4, -v59
	v_fmac_f16_e32 v38, 0x3a79, v80
	v_fmac_f16_e32 v39, 0x34f2, v61
	v_fma_f16 v41, v41, 0xbb9c, -v24
	v_fma_f16 v42, v42, 0xb8b4, -v58
	v_mul_lo_u16 v26, v22, 10
	v_mov_b32_e32 v43, 2
	v_pk_add_f16 v44, v12, v10
	v_pk_add_f16 v65, v13, v11
	v_add_co_ci_u32_e64 v27, null, 0, 0, s0
	v_sub_f16_e32 v58, v28, v35
	v_sub_f16_e32 v59, v30, v36
	;; [unrolled: 1-line block ×8, first 2 shown]
	v_lshlrev_b32_sdwa v84, v43, v26 dst_sel:DWORD dst_unused:UNUSED_PAD src0_sel:DWORD src1_sel:WORD_0
	v_pk_add_f16 v10, v44, v65
	v_pack_b32_f16 v11, v46, v51
	v_pack_b32_f16 v13, v49, v53
	;; [unrolled: 1-line block ×3, first 2 shown]
	v_mul_u32_u24_e32 v81, 10, v67
	v_pk_add_f16 v44, v44, v65 neg_lo:[0,1] neg_hi:[0,1]
	v_pack_b32_f16 v45, v55, v45
	v_pack_b32_f16 v46, v56, v62
	;; [unrolled: 1-line block ×5, first 2 shown]
	s_waitcnt lgkmcnt(0)
	s_barrier
	buffer_gl0_inv
	ds_write2_b64 v84, v[10:11], v[12:13] offset1:1
	ds_write2_b64 v84, v[43:44], v[45:46] offset0:2 offset1:3
	ds_write_b64 v84, v[47:48] offset:32
	s_and_saveexec_b32 s0, vcc_lo
	s_cbranch_execz .LBB0_7
; %bb.6:
	v_pk_add_f16 v6, v8, v6
	v_pk_add_f16 v7, v9, v7
	v_add_f16_e32 v9, v32, v41
	v_add_f16_e32 v11, v28, v35
	;; [unrolled: 1-line block ×3, first 2 shown]
	v_pk_add_f16 v4, v4, v6
	v_pk_add_f16 v5, v5, v7
	v_add_f16_e32 v6, v34, v39
	v_add_f16_e32 v7, v31, v38
	;; [unrolled: 1-line block ×3, first 2 shown]
	v_pk_add_f16 v2, v2, v4
	v_pk_add_f16 v3, v3, v5
	v_add_f16_e32 v4, v29, v37
	v_add_f16_e32 v5, v30, v36
	v_lshlrev_b32_e32 v14, 2, v81
	v_pk_add_f16 v12, v0, v2
	v_pk_add_f16 v13, v1, v3
	v_pack_b32_f16 v1, v4, v9
	v_pack_b32_f16 v0, v5, v6
	;; [unrolled: 1-line block ×3, first 2 shown]
	v_perm_b32 v7, v61, v59, 0x5040100
	v_pk_add_f16 v2, v13, v12
	v_pk_add_f16 v5, v12, v13 neg_lo:[0,1] neg_hi:[0,1]
	v_perm_b32 v6, v60, v58, 0x5040100
	v_pack_b32_f16 v4, v10, v8
	v_perm_b32 v9, v82, v25, 0x5040100
	v_perm_b32 v8, v83, v24, 0x5040100
	ds_write2_b64 v14, v[2:3], v[0:1] offset1:1
	ds_write2_b64 v14, v[4:5], v[6:7] offset0:2 offset1:3
	ds_write_b64 v14, v[8:9] offset:32
.LBB0_7:
	s_or_b32 exec_lo, exec_lo, s0
	v_and_b32_e32 v0, 0xff, v22
	s_waitcnt lgkmcnt(0)
	s_barrier
	buffer_gl0_inv
	v_add_nc_u32_e32 v45, 0x200, v68
	v_mul_lo_u16 v0, 0xcd, v0
	v_add_nc_u32_e32 v46, 0x400, v68
	v_add_nc_u32_e32 v47, 0x800, v68
	;; [unrolled: 1-line block ×4, first 2 shown]
	v_lshrrev_b16 v26, 11, v0
	v_add_nc_u32_e32 v42, 0x1200, v68
	v_add_nc_u32_e32 v50, 0x1000, v68
	v_mov_b32_e32 v48, 0xa0
	v_add_nc_u32_e32 v51, 0xe00, v68
	v_mul_lo_u16 v0, v26, 10
	v_cmp_gt_u16_e64 s0, 30, v22
	v_mul_u32_u24_sdwa v26, v26, v48 dst_sel:DWORD dst_unused:UNUSED_PAD src0_sel:WORD_0 src1_sel:DWORD
	v_sub_nc_u16 v0, v22, v0
	v_and_b32_e32 v44, 0xff, v0
	v_mad_u64_u32 v[12:13], null, v44, 60, s[4:5]
	v_or_b32_e32 v26, v26, v44
	s_clause 0x3
	global_load_dwordx4 v[8:11], v[12:13], off
	global_load_dwordx4 v[4:7], v[12:13], off offset:16
	global_load_dwordx4 v[0:3], v[12:13], off offset:32
	global_load_dwordx3 v[12:14], v[12:13], off offset:48
	ds_read2_b32 v[28:29], v68 offset1:90
	ds_read2_b32 v[30:31], v45 offset0:52 offset1:142
	ds_read2_b32 v[32:33], v46 offset0:104 offset1:194
	;; [unrolled: 1-line block ×7, first 2 shown]
	v_lshlrev_b32_e32 v80, 2, v26
	s_waitcnt vmcnt(0) lgkmcnt(0)
	s_barrier
	buffer_gl0_inv
	v_lshrrev_b32_e32 v49, 16, v29
	v_lshrrev_b32_e32 v53, 16, v30
	;; [unrolled: 1-line block ×16, first 2 shown]
	v_mul_f16_sdwa v26, v49, v8 dst_sel:DWORD dst_unused:UNUSED_PAD src0_sel:DWORD src1_sel:WORD_1
	v_mul_f16_sdwa v89, v29, v8 dst_sel:DWORD dst_unused:UNUSED_PAD src0_sel:DWORD src1_sel:WORD_1
	;; [unrolled: 1-line block ×30, first 2 shown]
	v_fma_f16 v30, v30, v9, -v90
	v_fma_f16 v31, v31, v10, -v92
	;; [unrolled: 1-line block ×6, first 2 shown]
	v_fmac_f16_e32 v89, v49, v8
	v_fmac_f16_e32 v91, v53, v9
	;; [unrolled: 1-line block ×5, first 2 shown]
	v_fma_f16 v26, v29, v8, -v26
	v_fmac_f16_e32 v99, v57, v5
	v_fmac_f16_e32 v101, v62, v6
	v_fma_f16 v29, v36, v7, -v102
	v_fmac_f16_e32 v103, v63, v7
	v_fma_f16 v36, v37, v0, -v104
	;; [unrolled: 2-line block ×8, first 2 shown]
	v_fmac_f16_e32 v117, v88, v14
	v_sub_f16_e32 v29, v28, v29
	v_sub_f16_e32 v43, v48, v103
	;; [unrolled: 1-line block ×16, first 2 shown]
	v_fma_f16 v48, v48, 2.0, -v43
	v_fma_f16 v32, v32, 2.0, -v39
	;; [unrolled: 1-line block ×12, first 2 shown]
	v_sub_f16_e32 v44, v29, v44
	v_add_f16_e32 v39, v43, v39
	v_sub_f16_e32 v53, v37, v53
	v_add_f16_e32 v41, v49, v41
	;; [unrolled: 2-line block ×4, first 2 shown]
	v_fma_f16 v28, v28, 2.0, -v29
	v_fma_f16 v30, v30, 2.0, -v37
	;; [unrolled: 1-line block ×4, first 2 shown]
	v_sub_f16_e32 v62, v48, v62
	v_fma_f16 v29, v29, 2.0, -v44
	v_fma_f16 v43, v43, 2.0, -v39
	v_sub_f16_e32 v64, v63, v64
	v_fma_f16 v37, v37, 2.0, -v53
	v_fma_f16 v49, v49, 2.0, -v41
	;; [unrolled: 3-line block ×4, first 2 shown]
	v_fmamk_f16 v88, v53, 0x39a8, v44
	v_fmamk_f16 v89, v41, 0x39a8, v39
	v_sub_f16_e32 v32, v28, v32
	v_sub_f16_e32 v34, v30, v34
	;; [unrolled: 1-line block ×4, first 2 shown]
	v_fmamk_f16 v90, v57, 0x39a8, v55
	v_fmamk_f16 v93, v42, 0x39a8, v40
	v_fma_f16 v48, v48, 2.0, -v62
	v_fma_f16 v63, v63, 2.0, -v64
	;; [unrolled: 1-line block ×4, first 2 shown]
	v_fmamk_f16 v94, v37, 0xb9a8, v29
	v_fmamk_f16 v95, v49, 0xb9a8, v43
	v_fmac_f16_e32 v88, 0xb9a8, v41
	v_fmac_f16_e32 v89, 0x39a8, v53
	v_fmamk_f16 v41, v38, 0xb9a8, v36
	v_fmamk_f16 v53, v56, 0xb9a8, v54
	v_fma_f16 v30, v30, 2.0, -v34
	v_fma_f16 v31, v31, 2.0, -v35
	v_sub_f16_e32 v64, v32, v64
	v_add_f16_e32 v34, v62, v34
	v_sub_f16_e32 v87, v33, v87
	v_add_f16_e32 v35, v85, v35
	v_fmac_f16_e32 v90, 0xb9a8, v42
	v_fmac_f16_e32 v93, 0x39a8, v57
	v_fma_f16 v28, v28, 2.0, -v32
	v_fma_f16 v26, v26, 2.0, -v33
	v_sub_f16_e32 v42, v48, v63
	v_fmac_f16_e32 v94, 0xb9a8, v49
	v_fmac_f16_e32 v95, 0x39a8, v37
	v_sub_f16_e32 v49, v65, v86
	v_fmac_f16_e32 v41, 0xb9a8, v56
	v_fmac_f16_e32 v53, 0x39a8, v38
	v_fma_f16 v32, v32, 2.0, -v64
	v_fma_f16 v37, v62, 2.0, -v34
	;; [unrolled: 1-line block ×8, first 2 shown]
	v_sub_f16_e32 v30, v28, v30
	v_sub_f16_e32 v31, v26, v31
	v_fmamk_f16 v56, v87, 0x39a8, v64
	v_fmamk_f16 v57, v35, 0x39a8, v34
	;; [unrolled: 1-line block ×4, first 2 shown]
	v_fma_f16 v48, v48, 2.0, -v42
	v_fma_f16 v29, v29, 2.0, -v94
	v_fma_f16 v43, v43, 2.0, -v95
	v_fma_f16 v62, v65, 2.0, -v49
	v_fma_f16 v36, v36, 2.0, -v41
	v_fma_f16 v54, v54, 2.0, -v53
	v_fmamk_f16 v63, v33, 0xb9a8, v32
	v_fmamk_f16 v65, v38, 0xb9a8, v37
	;; [unrolled: 1-line block ×6, first 2 shown]
	v_fma_f16 v26, v26, 2.0, -v31
	v_sub_f16_e32 v49, v30, v49
	v_add_f16_e32 v31, v42, v31
	v_fmac_f16_e32 v56, 0xb9a8, v35
	v_fmac_f16_e32 v57, 0x39a8, v87
	;; [unrolled: 1-line block ×4, first 2 shown]
	v_fma_f16 v28, v28, 2.0, -v30
	v_sub_f16_e32 v35, v48, v62
	v_fmamk_f16 v62, v36, 0xbb64, v29
	v_fmamk_f16 v87, v54, 0xbb64, v43
	v_fmac_f16_e32 v63, 0xb9a8, v38
	v_fmac_f16_e32 v65, 0x39a8, v33
	;; [unrolled: 1-line block ×6, first 2 shown]
	v_fma_f16 v30, v30, 2.0, -v49
	v_fma_f16 v33, v42, 2.0, -v31
	;; [unrolled: 1-line block ×6, first 2 shown]
	v_sub_f16_e32 v26, v28, v26
	v_fmac_f16_e32 v62, 0xb61f, v54
	v_fmac_f16_e32 v87, 0x361f, v36
	v_fma_f16 v32, v32, 2.0, -v63
	v_fma_f16 v36, v37, 2.0, -v65
	;; [unrolled: 1-line block ×6, first 2 shown]
	v_pack_b32_f16 v30, v30, v33
	v_pack_b32_f16 v33, v38, v34
	;; [unrolled: 1-line block ×3, first 2 shown]
	v_fma_f16 v28, v28, 2.0, -v26
	v_fma_f16 v48, v48, 2.0, -v35
	;; [unrolled: 1-line block ×4, first 2 shown]
	v_pack_b32_f16 v31, v49, v31
	v_pack_b32_f16 v42, v56, v57
	v_pack_b32_f16 v49, v91, v92
	v_pack_b32_f16 v26, v26, v35
	v_pack_b32_f16 v35, v63, v65
	v_pack_b32_f16 v38, v85, v86
	v_pack_b32_f16 v40, v96, v97
	v_pack_b32_f16 v32, v32, v36
	v_pack_b32_f16 v36, v37, v39
	v_pack_b32_f16 v37, v44, v53
	ds_write2_b32 v80, v33, v34 offset0:60 offset1:70
	v_pack_b32_f16 v33, v62, v87
	v_pack_b32_f16 v28, v28, v48
	;; [unrolled: 1-line block ×3, first 2 shown]
	ds_write2_b32 v80, v42, v49 offset0:140 offset1:150
	ds_write2_b32 v80, v35, v38 offset0:100 offset1:110
	;; [unrolled: 1-line block ×6, first 2 shown]
	ds_write2_b32 v80, v28, v29 offset1:10
	s_waitcnt lgkmcnt(0)
	s_barrier
	buffer_gl0_inv
	ds_read2_b32 v[48:49], v68 offset1:90
	ds_read2_b32 v[42:43], v46 offset0:104 offset1:224
	ds_read2_b32 v[56:57], v51 offset0:64 offset1:154
	;; [unrolled: 1-line block ×6, first 2 shown]
	ds_read_b32 v62, v68 offset:5280
	s_and_saveexec_b32 s1, s0
	s_cbranch_execz .LBB0_9
; %bb.8:
	ds_read_b32 v91, v68 offset:1800
	ds_read_b32 v58, v68 offset:3720
	;; [unrolled: 1-line block ×3, first 2 shown]
	s_waitcnt lgkmcnt(2)
	v_lshrrev_b32_e32 v92, 16, v91
	s_waitcnt lgkmcnt(1)
	v_lshrrev_b32_e32 v60, 16, v58
	;; [unrolled: 2-line block ×3, first 2 shown]
.LBB0_9:
	s_or_b32 exec_lo, exec_lo, s1
	v_add_co_u32 v26, s1, 0xffffffba, v22
	v_add_co_ci_u32_e64 v30, null, 0, -1, s1
	v_cmp_gt_u16_e64 s1, 0x46, v22
	v_lshlrev_b64 v[28:29], 3, v[22:23]
	v_mov_b32_e32 v23, 0xcccd
	s_waitcnt lgkmcnt(6)
	v_lshrrev_b32_e32 v94, 16, v43
	s_waitcnt lgkmcnt(5)
	v_lshrrev_b32_e32 v95, 16, v56
	v_cndmask_b32_e64 v65, v30, v27, s1
	v_cndmask_b32_e64 v64, v26, v67, s1
	v_add_co_u32 v40, s1, s4, v28
	v_add_co_ci_u32_e64 v41, s1, s5, v29, s1
	v_lshlrev_b64 v[30:31], 3, v[64:65]
	v_add_co_u32 v26, s1, 0x10e, v22
	v_add_co_ci_u32_e64 v27, null, 0, 0, s1
	global_load_dwordx2 v[28:29], v[40:41], off offset:600
	v_add_co_u32 v30, s1, s4, v30
	v_mul_u32_u24_sdwa v32, v26, v23 dst_sel:DWORD dst_unused:UNUSED_PAD src0_sel:WORD_0 src1_sel:DWORD
	v_add_co_ci_u32_e64 v31, s1, s5, v31, s1
	v_add_co_u32 v44, s1, 0x168, v22
	v_add_co_ci_u32_e64 v45, null, 0, 0, s1
	global_load_dwordx2 v[30:31], v[30:31], off offset:600
	v_add_co_u32 v89, s1, 0x1c2, v22
	v_lshrrev_b32_e32 v65, 23, v32
	v_mul_u32_u24_sdwa v32, v44, v23 dst_sel:DWORD dst_unused:UNUSED_PAD src0_sel:WORD_0 src1_sel:DWORD
	v_add_co_ci_u32_e64 v90, null, 0, 0, s1
	v_mul_u32_u24_sdwa v23, v89, v23 dst_sel:DWORD dst_unused:UNUSED_PAD src0_sel:WORD_0 src1_sel:DWORD
	v_mul_lo_u16 v33, 0xa0, v65
	v_lshrrev_b32_e32 v32, 23, v32
	v_mov_b32_e32 v63, 2
	v_lshrrev_b32_e32 v93, 16, v48
	v_lshrrev_b32_e32 v23, 23, v23
	v_sub_nc_u16 v87, v26, v33
	v_mul_lo_u16 v32, 0xa0, v32
	s_waitcnt lgkmcnt(4)
	v_lshrrev_b32_e32 v97, 16, v54
	v_lshrrev_b32_e32 v98, 16, v57
	v_mul_lo_u16 v23, 0xa0, v23
	v_lshlrev_b16 v33, 3, v87
	v_sub_nc_u16 v88, v44, v32
	v_mad_u16 v65, 0x1e0, v65, v87
	v_lshrrev_b32_e32 v96, 16, v49
	v_sub_nc_u16 v23, v89, v23
	v_and_b32_e32 v32, 0xffff, v33
	v_lshlrev_b16 v34, 3, v88
	v_lshrrev_b32_e32 v100, 16, v55
	s_waitcnt lgkmcnt(2)
	v_lshrrev_b32_e32 v101, 16, v50
	v_lshlrev_b16 v35, 3, v23
	v_add_co_u32 v32, s1, s4, v32
	v_add_co_ci_u32_e64 v33, null, s5, 0, s1
	v_and_b32_e32 v34, 0xffff, v34
	v_and_b32_e32 v35, 0xffff, v35
	s_clause 0x1
	global_load_dwordx2 v[36:37], v[32:33], off offset:600
	global_load_dwordx2 v[38:39], v[40:41], off offset:760
	s_waitcnt lgkmcnt(1)
	v_lshrrev_b32_e32 v103, 16, v52
	v_add_co_u32 v32, s1, s4, v34
	v_add_co_ci_u32_e64 v33, null, s5, 0, s1
	v_add_co_u32 v85, s1, s4, v35
	v_add_co_ci_u32_e64 v86, null, s5, 0, s1
	s_clause 0x1
	global_load_dwordx2 v[34:35], v[32:33], off offset:600
	global_load_dwordx2 v[32:33], v[85:86], off offset:600
	v_cmp_lt_u16_e64 s1, 0x45, v22
	v_lshrrev_b32_e32 v104, 16, v51
	v_lshrrev_b32_e32 v106, 16, v53
	v_lshlrev_b32_sdwa v85, v63, v88 dst_sel:DWORD dst_unused:UNUSED_PAD src0_sel:DWORD src1_sel:WORD_0
	s_waitcnt lgkmcnt(0)
	v_lshrrev_b32_e32 v88, 16, v62
	v_cndmask_b32_e64 v86, 0, 0x1e0, s1
	s_waitcnt vmcnt(0)
	s_barrier
	buffer_gl0_inv
	v_lshrrev_b32_e32 v99, 16, v46
	v_add_lshl_u32 v87, v64, v86, 2
	v_lshlrev_b32_sdwa v86, v63, v65 dst_sel:DWORD dst_unused:UNUSED_PAD src0_sel:DWORD src1_sel:WORD_0
	v_lshrrev_b32_e32 v105, 16, v42
	v_lshrrev_b32_e32 v102, 16, v47
	v_add_nc_u32_e32 v107, 0x700, v68
	v_add_nc_u32_e32 v64, 0xe00, v85
	v_mul_f16_sdwa v65, v94, v28 dst_sel:DWORD dst_unused:UNUSED_PAD src0_sel:DWORD src1_sel:WORD_1
	v_mul_f16_sdwa v108, v43, v28 dst_sel:DWORD dst_unused:UNUSED_PAD src0_sel:DWORD src1_sel:WORD_1
	;; [unrolled: 1-line block ×4, first 2 shown]
	v_fma_f16 v43, v43, v28, -v65
	v_fmac_f16_e32 v108, v94, v28
	v_fma_f16 v56, v56, v29, -v109
	v_fmac_f16_e32 v110, v95, v29
	v_mul_f16_sdwa v94, v54, v30 dst_sel:DWORD dst_unused:UNUSED_PAD src0_sel:DWORD src1_sel:WORD_1
	v_mul_f16_sdwa v109, v57, v31 dst_sel:DWORD dst_unused:UNUSED_PAD src0_sel:DWORD src1_sel:WORD_1
	v_add_f16_e32 v112, v43, v56
	v_sub_f16_e32 v113, v108, v110
	v_add_f16_e32 v114, v93, v108
	v_add_f16_e32 v108, v108, v110
	v_mul_f16_sdwa v65, v97, v30 dst_sel:DWORD dst_unused:UNUSED_PAD src0_sel:DWORD src1_sel:WORD_1
	v_mul_f16_sdwa v95, v98, v31 dst_sel:DWORD dst_unused:UNUSED_PAD src0_sel:DWORD src1_sel:WORD_1
	v_add_f16_e32 v111, v48, v43
	v_sub_f16_e32 v43, v43, v56
	v_fmac_f16_e32 v94, v97, v30
	v_fma_f16 v48, -0.5, v112, v48
	v_fmac_f16_e32 v109, v98, v31
	v_fmac_f16_e32 v93, -0.5, v108
	v_fma_f16 v54, v54, v30, -v65
	v_fma_f16 v57, v57, v31, -v95
	v_add_f16_e32 v56, v111, v56
	v_add_f16_e32 v65, v114, v110
	v_fmamk_f16 v95, v113, 0x3aee, v48
	v_fmac_f16_e32 v48, 0xbaee, v113
	v_fmamk_f16 v97, v43, 0xbaee, v93
	v_fmac_f16_e32 v93, 0x3aee, v43
	v_sub_f16_e32 v108, v94, v109
	v_add_f16_e32 v110, v96, v94
	v_add_f16_e32 v94, v94, v109
	;; [unrolled: 1-line block ×4, first 2 shown]
	v_pack_b32_f16 v56, v56, v65
	v_pack_b32_f16 v65, v95, v97
	v_fmac_f16_e32 v96, -0.5, v94
	v_pack_b32_f16 v48, v48, v93
	v_sub_f16_e32 v54, v54, v57
	v_add_f16_e32 v43, v43, v57
	v_fmac_f16_e32 v49, -0.5, v98
	v_add_f16_e32 v57, v110, v109
	v_mul_f16_sdwa v93, v100, v38 dst_sel:DWORD dst_unused:UNUSED_PAD src0_sel:DWORD src1_sel:WORD_1
	v_mul_f16_sdwa v94, v55, v38 dst_sel:DWORD dst_unused:UNUSED_PAD src0_sel:DWORD src1_sel:WORD_1
	;; [unrolled: 1-line block ×8, first 2 shown]
	ds_write2_b32 v68, v56, v65 offset1:160
	ds_write_b32 v68, v48 offset:1280
	v_fma_f16 v48, v55, v38, -v93
	v_fmac_f16_e32 v94, v100, v38
	v_mul_f16_sdwa v112, v106, v34 dst_sel:DWORD dst_unused:UNUSED_PAD src0_sel:DWORD src1_sel:WORD_1
	v_mul_f16_sdwa v113, v53, v34 dst_sel:DWORD dst_unused:UNUSED_PAD src0_sel:DWORD src1_sel:WORD_1
	v_mul_f16_sdwa v114, v88, v35 dst_sel:DWORD dst_unused:UNUSED_PAD src0_sel:DWORD src1_sel:WORD_1
	v_mul_f16_sdwa v115, v62, v35 dst_sel:DWORD dst_unused:UNUSED_PAD src0_sel:DWORD src1_sel:WORD_1
	v_mul_f16_sdwa v116, v60, v32 dst_sel:DWORD dst_unused:UNUSED_PAD src0_sel:DWORD src1_sel:WORD_1
	v_mul_f16_sdwa v117, v58, v32 dst_sel:DWORD dst_unused:UNUSED_PAD src0_sel:DWORD src1_sel:WORD_1
	v_mul_f16_sdwa v118, v61, v33 dst_sel:DWORD dst_unused:UNUSED_PAD src0_sel:DWORD src1_sel:WORD_1
	v_mul_f16_sdwa v119, v59, v33 dst_sel:DWORD dst_unused:UNUSED_PAD src0_sel:DWORD src1_sel:WORD_1
	v_fma_f16 v50, v50, v39, -v95
	v_fmac_f16_e32 v97, v101, v39
	v_fma_f16 v52, v52, v36, -v98
	v_fmac_f16_e32 v109, v103, v36
	;; [unrolled: 2-line block ×3, first 2 shown]
	v_fmamk_f16 v120, v108, 0x3aee, v49
	v_fmac_f16_e32 v49, 0xbaee, v108
	v_fmamk_f16 v108, v54, 0xbaee, v96
	v_fmac_f16_e32 v96, 0x3aee, v54
	v_fma_f16 v53, v53, v34, -v112
	v_fmac_f16_e32 v113, v106, v34
	v_fma_f16 v54, v62, v35, -v114
	;; [unrolled: 2-line block ×4, first 2 shown]
	v_fmac_f16_e32 v119, v61, v33
	v_add_f16_e32 v59, v48, v50
	v_add_f16_e32 v62, v94, v97
	v_add_f16_e32 v88, v52, v51
	v_add_f16_e32 v95, v109, v111
	v_add_f16_e32 v98, v53, v54
	v_add_f16_e32 v103, v113, v115
	v_pack_b32_f16 v43, v43, v57
	v_pack_b32_f16 v57, v120, v108
	;; [unrolled: 1-line block ×3, first 2 shown]
	v_add_f16_e32 v58, v46, v48
	v_sub_f16_e32 v60, v94, v97
	v_add_f16_e32 v61, v99, v94
	v_sub_f16_e32 v48, v48, v50
	v_add_f16_e32 v65, v47, v52
	v_add_f16_e32 v96, v42, v53
	;; [unrolled: 1-line block ×6, first 2 shown]
	v_fma_f16 v46, -0.5, v59, v46
	v_fmac_f16_e32 v99, -0.5, v62
	v_sub_f16_e32 v93, v109, v111
	v_add_f16_e32 v94, v102, v109
	v_sub_f16_e32 v52, v52, v51
	v_fmac_f16_e32 v47, -0.5, v88
	v_fmac_f16_e32 v102, -0.5, v95
	v_sub_f16_e32 v100, v113, v115
	v_sub_f16_e32 v53, v53, v54
	v_fmac_f16_e32 v42, -0.5, v98
	v_fmac_f16_e32 v105, -0.5, v103
	v_sub_f16_e32 v108, v117, v119
	v_add_f16_e32 v109, v92, v117
	v_sub_f16_e32 v55, v55, v56
	ds_write2_b32 v87, v43, v57 offset1:160
	ds_write_b32 v87, v49 offset:1280
	v_add_f16_e32 v43, v58, v50
	v_add_f16_e32 v49, v61, v97
	;; [unrolled: 1-line block ×6, first 2 shown]
	v_fmac_f16_e32 v91, -0.5, v106
	v_fmac_f16_e32 v92, -0.5, v110
	v_fmamk_f16 v56, v60, 0x3aee, v46
	v_fmac_f16_e32 v46, 0xbaee, v60
	v_fmamk_f16 v60, v48, 0xbaee, v99
	v_fmac_f16_e32 v99, 0x3aee, v48
	v_add_f16_e32 v58, v94, v111
	v_fmamk_f16 v48, v93, 0x3aee, v47
	v_fmamk_f16 v61, v52, 0xbaee, v102
	v_fmac_f16_e32 v47, 0xbaee, v93
	v_fmac_f16_e32 v102, 0x3aee, v52
	v_fmamk_f16 v52, v100, 0x3aee, v42
	v_fmamk_f16 v62, v53, 0xbaee, v105
	v_add_f16_e32 v88, v109, v119
	v_fmac_f16_e32 v42, 0xbaee, v100
	v_fmac_f16_e32 v105, 0x3aee, v53
	v_fmamk_f16 v50, v108, 0x3aee, v91
	v_fmac_f16_e32 v91, 0xbaee, v108
	v_fmamk_f16 v93, v55, 0xbaee, v92
	v_fmac_f16_e32 v92, 0x3aee, v55
	v_pack_b32_f16 v43, v43, v49
	v_pack_b32_f16 v53, v54, v59
	v_pack_b32_f16 v54, v56, v60
	v_pack_b32_f16 v46, v46, v99
	v_pack_b32_f16 v49, v57, v58
	v_pack_b32_f16 v48, v48, v61
	v_pack_b32_f16 v47, v47, v102
	v_pack_b32_f16 v52, v52, v62
	v_pack_b32_f16 v42, v42, v105
	ds_write2_b32 v107, v43, v54 offset0:52 offset1:212
	ds_write_b32 v68, v46 offset:3280
	ds_write2_b32 v86, v49, v48 offset1:160
	ds_write_b32 v86, v47 offset:1280
	ds_write2_b32 v64, v53, v52 offset0:64 offset1:224
	ds_write_b32 v85, v42 offset:5120
	s_and_saveexec_b32 s1, s0
	s_cbranch_execz .LBB0_11
; %bb.10:
	v_lshlrev_b32_sdwa v42, v63, v23 dst_sel:DWORD dst_unused:UNUSED_PAD src0_sel:DWORD src1_sel:WORD_0
	v_perm_b32 v43, v88, v51, 0x5040100
	v_perm_b32 v46, v93, v50, 0x5040100
	;; [unrolled: 1-line block ×3, first 2 shown]
	v_add_nc_u32_e32 v47, 0xe00, v42
	ds_write2_b32 v47, v43, v46 offset0:64 offset1:224
	ds_write_b32 v42, v48 offset:5120
.LBB0_11:
	s_or_b32 exec_lo, exec_lo, s1
	v_add_nc_u32_e32 v42, 0x400, v68
	s_waitcnt lgkmcnt(0)
	s_barrier
	buffer_gl0_inv
	ds_read2_b32 v[56:57], v68 offset1:90
	ds_read2_b32 v[52:53], v42 offset0:104 offset1:224
	v_add_nc_u32_e32 v42, 0xe00, v68
	v_add_nc_u32_e32 v94, 0x800, v68
	;; [unrolled: 1-line block ×5, first 2 shown]
	ds_read2_b32 v[64:65], v42 offset0:64 offset1:154
	ds_read2_b32 v[62:63], v94 offset0:58 offset1:148
	;; [unrolled: 1-line block ×5, first 2 shown]
	ds_read_b32 v95, v68 offset:5280
	s_and_saveexec_b32 s1, s0
	s_cbranch_execz .LBB0_13
; %bb.12:
	ds_read_b32 v51, v68 offset:1800
	ds_read_b32 v50, v68 offset:3720
	;; [unrolled: 1-line block ×3, first 2 shown]
	s_waitcnt lgkmcnt(2)
	v_lshrrev_b32_e32 v88, 16, v51
	s_waitcnt lgkmcnt(1)
	v_lshrrev_b32_e32 v93, 16, v50
	;; [unrolled: 2-line block ×3, first 2 shown]
.LBB0_13:
	s_or_b32 exec_lo, exec_lo, s1
	v_lshlrev_b64 v[26:27], 3, v[26:27]
	v_lshlrev_b64 v[44:45], 3, v[44:45]
	global_load_dwordx2 v[42:43], v[40:41], off offset:1880
	v_lshlrev_b32_e32 v40, 3, v67
	v_lshl_add_u32 v41, v22, 3, 0x5a0
	s_clause 0x1
	global_load_dwordx2 v[46:47], v40, s[4:5] offset:1880
	global_load_dwordx2 v[40:41], v41, s[4:5] offset:1880
	v_add_co_u32 v26, s1, s4, v26
	v_add_co_ci_u32_e64 v27, s1, s5, v27, s1
	v_add_co_u32 v44, s1, s4, v44
	v_add_co_ci_u32_e64 v45, s1, s5, v45, s1
	s_clause 0x1
	global_load_dwordx2 v[48:49], v[26:27], off offset:1880
	global_load_dwordx2 v[44:45], v[44:45], off offset:1880
	v_add_co_u32 v26, s1, 0xffffffe2, v22
	v_add_co_ci_u32_e64 v27, null, 0, -1, s1
	s_waitcnt lgkmcnt(6)
	v_lshrrev_b32_e32 v99, 16, v53
	v_cndmask_b32_e64 v26, v26, v89, s0
	s_waitcnt lgkmcnt(5)
	v_lshrrev_b32_e32 v100, 16, v64
	v_cndmask_b32_e64 v27, v27, v90, s0
	s_waitcnt lgkmcnt(4)
	v_lshrrev_b32_e32 v102, 16, v62
	v_lshrrev_b32_e32 v103, 16, v65
	;; [unrolled: 1-line block ×4, first 2 shown]
	v_lshlrev_b64 v[26:27], 3, v[26:27]
	s_waitcnt lgkmcnt(2)
	v_lshrrev_b32_e32 v106, 16, v60
	v_lshrrev_b32_e32 v101, 16, v57
	s_waitcnt lgkmcnt(1)
	v_lshrrev_b32_e32 v109, 16, v59
	s_waitcnt lgkmcnt(0)
	v_lshrrev_b32_e32 v114, 16, v95
	v_lshrrev_b32_e32 v107, 16, v58
	v_add_co_u32 v26, s1, s4, v26
	v_add_co_ci_u32_e64 v27, s1, s5, v27, s1
	v_lshrrev_b32_e32 v108, 16, v61
	v_lshrrev_b32_e32 v104, 16, v54
	;; [unrolled: 1-line block ×3, first 2 shown]
	global_load_dwordx2 v[26:27], v[26:27], off offset:1880
	v_lshrrev_b32_e32 v90, 16, v52
	s_waitcnt vmcnt(5)
	v_mul_f16_sdwa v110, v99, v42 dst_sel:DWORD dst_unused:UNUSED_PAD src0_sel:DWORD src1_sel:WORD_1
	v_mul_f16_sdwa v111, v53, v42 dst_sel:DWORD dst_unused:UNUSED_PAD src0_sel:DWORD src1_sel:WORD_1
	;; [unrolled: 1-line block ×4, first 2 shown]
	v_fma_f16 v53, v53, v42, -v110
	v_fmac_f16_e32 v111, v99, v42
	v_fma_f16 v64, v64, v43, -v112
	v_fmac_f16_e32 v113, v100, v43
	s_waitcnt vmcnt(4)
	v_mul_f16_sdwa v99, v102, v46 dst_sel:DWORD dst_unused:UNUSED_PAD src0_sel:DWORD src1_sel:WORD_1
	v_mul_f16_sdwa v100, v62, v46 dst_sel:DWORD dst_unused:UNUSED_PAD src0_sel:DWORD src1_sel:WORD_1
	;; [unrolled: 1-line block ×3, first 2 shown]
	s_waitcnt vmcnt(3)
	v_mul_f16_sdwa v116, v63, v40 dst_sel:DWORD dst_unused:UNUSED_PAD src0_sel:DWORD src1_sel:WORD_1
	v_mul_f16_sdwa v118, v60, v41 dst_sel:DWORD dst_unused:UNUSED_PAD src0_sel:DWORD src1_sel:WORD_1
	;; [unrolled: 1-line block ×5, first 2 shown]
	v_fma_f16 v62, v62, v46, -v99
	v_fmac_f16_e32 v100, v102, v46
	v_fma_f16 v65, v65, v47, -v110
	v_fmac_f16_e32 v116, v105, v40
	v_fmac_f16_e32 v118, v106, v41
	v_add_f16_e32 v99, v56, v53
	v_add_f16_e32 v102, v53, v64
	;; [unrolled: 1-line block ×4, first 2 shown]
	s_waitcnt vmcnt(1)
	v_mul_f16_sdwa v120, v59, v44 dst_sel:DWORD dst_unused:UNUSED_PAD src0_sel:DWORD src1_sel:WORD_1
	v_mul_f16_sdwa v122, v95, v45 dst_sel:DWORD dst_unused:UNUSED_PAD src0_sel:DWORD src1_sel:WORD_1
	v_fmac_f16_e32 v112, v103, v47
	v_fma_f16 v63, v63, v40, -v115
	v_fma_f16 v60, v60, v41, -v117
	v_sub_f16_e32 v103, v111, v113
	v_sub_f16_e32 v53, v53, v64
	v_mul_f16_sdwa v111, v58, v48 dst_sel:DWORD dst_unused:UNUSED_PAD src0_sel:DWORD src1_sel:WORD_1
	v_mul_f16_sdwa v117, v61, v49 dst_sel:DWORD dst_unused:UNUSED_PAD src0_sel:DWORD src1_sel:WORD_1
	;; [unrolled: 1-line block ×4, first 2 shown]
	v_add_f16_e32 v64, v99, v64
	v_fma_f16 v56, -0.5, v102, v56
	v_add_f16_e32 v99, v105, v113
	v_fmac_f16_e32 v67, -0.5, v106
	v_add_f16_e32 v102, v57, v62
	v_add_f16_e32 v105, v62, v65
	;; [unrolled: 1-line block ×3, first 2 shown]
	v_fmac_f16_e32 v120, v109, v44
	v_fmac_f16_e32 v122, v114, v45
	v_mul_f16_sdwa v110, v107, v48 dst_sel:DWORD dst_unused:UNUSED_PAD src0_sel:DWORD src1_sel:WORD_1
	v_mul_f16_sdwa v115, v108, v49 dst_sel:DWORD dst_unused:UNUSED_PAD src0_sel:DWORD src1_sel:WORD_1
	v_sub_f16_e32 v106, v100, v112
	v_add_f16_e32 v100, v100, v112
	v_sub_f16_e32 v62, v62, v65
	v_add_f16_e32 v123, v54, v63
	;; [unrolled: 2-line block ×3, first 2 shown]
	v_add_f16_e32 v116, v116, v118
	v_fmac_f16_e32 v111, v107, v48
	v_fmac_f16_e32 v117, v108, v49
	v_fma_f16 v59, v59, v44, -v119
	v_fma_f16 v95, v95, v45, -v121
	v_fmamk_f16 v107, v103, 0x3aee, v56
	v_fmac_f16_e32 v56, 0xbaee, v103
	v_fmamk_f16 v103, v53, 0xbaee, v67
	v_fmac_f16_e32 v67, 0x3aee, v53
	v_add_f16_e32 v53, v102, v65
	v_fmac_f16_e32 v57, -0.5, v105
	v_add_f16_e32 v65, v113, v112
	v_pack_b32_f16 v64, v64, v99
	s_waitcnt vmcnt(0)
	v_mul_f16_sdwa v99, v93, v26 dst_sel:DWORD dst_unused:UNUSED_PAD src0_sel:DWORD src1_sel:WORD_1
	v_mul_f16_sdwa v102, v50, v26 dst_sel:DWORD dst_unused:UNUSED_PAD src0_sel:DWORD src1_sel:WORD_1
	v_mul_f16_sdwa v105, v92, v27 dst_sel:DWORD dst_unused:UNUSED_PAD src0_sel:DWORD src1_sel:WORD_1
	v_mul_f16_sdwa v108, v91, v27 dst_sel:DWORD dst_unused:UNUSED_PAD src0_sel:DWORD src1_sel:WORD_1
	v_add_f16_e32 v119, v120, v122
	v_add_f16_e32 v124, v63, v60
	v_fma_f16 v58, v58, v48, -v110
	v_fma_f16 v61, v61, v49, -v115
	v_sub_f16_e32 v63, v63, v60
	v_fmac_f16_e32 v101, -0.5, v100
	v_add_f16_e32 v60, v123, v60
	v_add_f16_e32 v100, v126, v118
	v_fmac_f16_e32 v104, -0.5, v116
	v_sub_f16_e32 v112, v111, v117
	v_add_f16_e32 v113, v89, v111
	v_add_f16_e32 v111, v111, v117
	;; [unrolled: 1-line block ×5, first 2 shown]
	v_sub_f16_e32 v59, v59, v95
	v_pack_b32_f16 v53, v53, v65
	v_fma_f16 v50, v50, v26, -v99
	v_fmac_f16_e32 v102, v93, v26
	v_fma_f16 v65, v91, v27, -v105
	v_fmac_f16_e32 v108, v92, v27
	v_fmac_f16_e32 v90, -0.5, v119
	v_fma_f16 v54, -0.5, v124, v54
	v_add_f16_e32 v110, v58, v61
	v_add_f16_e32 v109, v55, v58
	v_sub_f16_e32 v58, v58, v61
	v_sub_f16_e32 v116, v120, v122
	v_fmamk_f16 v120, v106, 0x3aee, v57
	v_fmac_f16_e32 v57, 0xbaee, v106
	v_fmamk_f16 v106, v62, 0xbaee, v101
	v_fmac_f16_e32 v101, 0x3aee, v62
	;; [unrolled: 2-line block ×3, first 2 shown]
	v_pack_b32_f16 v63, v107, v103
	v_pack_b32_f16 v60, v60, v100
	v_fmac_f16_e32 v89, -0.5, v111
	v_fmamk_f16 v92, v59, 0xbaee, v90
	v_fmac_f16_e32 v90, 0x3aee, v59
	v_add_f16_e32 v59, v50, v65
	v_add_f16_e32 v100, v102, v108
	v_fmamk_f16 v62, v125, 0x3aee, v54
	v_fmac_f16_e32 v54, 0xbaee, v125
	v_pack_b32_f16 v67, v56, v67
	v_fmac_f16_e32 v55, -0.5, v110
	v_fmac_f16_e32 v52, -0.5, v115
	v_add_f16_e32 v61, v109, v61
	v_add_f16_e32 v99, v113, v117
	;; [unrolled: 1-line block ×3, first 2 shown]
	ds_write_b32 v68, v63 offset:1920
	ds_write_b32 v68, v67 offset:3840
	ds_write2_b32 v68, v64, v53 offset1:90
	v_pack_b32_f16 v63, v57, v101
	v_fmamk_f16 v93, v58, 0xbaee, v89
	v_fmac_f16_e32 v89, 0x3aee, v58
	v_add_f16_e32 v58, v51, v50
	v_sub_f16_e32 v67, v102, v108
	v_add_f16_e32 v95, v88, v102
	v_sub_f16_e32 v101, v50, v65
	v_fmac_f16_e32 v51, -0.5, v59
	v_fmac_f16_e32 v88, -0.5, v100
	v_pack_b32_f16 v53, v120, v106
	v_pack_b32_f16 v62, v62, v121
	v_pack_b32_f16 v64, v54, v104
	v_fmamk_f16 v54, v112, 0x3aee, v55
	v_fmac_f16_e32 v55, 0xbaee, v112
	v_add_f16_e32 v91, v118, v122
	v_fmamk_f16 v57, v116, 0x3aee, v52
	v_fmac_f16_e32 v52, 0xbaee, v116
	v_pack_b32_f16 v61, v61, v99
	ds_write_b32 v68, v63 offset:4200
	ds_write2_b32 v94, v53, v62 offset0:58 offset1:148
	v_add_f16_e32 v53, v58, v65
	v_add_f16_e32 v94, v95, v108
	v_fmamk_f16 v50, v67, 0x3aee, v51
	v_fmac_f16_e32 v51, 0xbaee, v67
	v_fmamk_f16 v95, v101, 0xbaee, v88
	v_fmac_f16_e32 v88, 0x3aee, v101
	v_pack_b32_f16 v59, v55, v89
	v_pack_b32_f16 v99, v56, v91
	;; [unrolled: 1-line block ×5, first 2 shown]
	ds_write2_b32 v96, v60, v61 offset0:52 offset1:142
	ds_write2_b32 v97, v64, v59 offset0:116 offset1:206
	ds_write_b32 v68, v99 offset:1440
	ds_write2_b32 v98, v58, v62 offset0:110 offset1:200
	ds_write_b32 v68, v63 offset:5280
	s_and_saveexec_b32 s1, s0
	s_cbranch_execz .LBB0_15
; %bb.14:
	v_perm_b32 v58, v94, v53, 0x5040100
	v_perm_b32 v59, v95, v50, 0x5040100
	;; [unrolled: 1-line block ×3, first 2 shown]
	ds_write_b32 v68, v58 offset:1800
	ds_write_b32 v68, v59 offset:3720
	;; [unrolled: 1-line block ×3, first 2 shown]
.LBB0_15:
	s_or_b32 exec_lo, exec_lo, s1
	v_lshlrev_b32_e32 v62, 2, v22
	s_add_u32 s4, s6, 0x1680
	s_addc_u32 s5, s7, 0
	s_waitcnt lgkmcnt(0)
	s_barrier
	buffer_gl0_inv
	s_clause 0x1
	global_load_dword v67, v62, s[4:5]
	global_load_dword v96, v62, s[4:5] offset:576
	v_add_co_u32 v60, s1, s4, v62
	v_add_co_ci_u32_e64 v61, null, s5, 0, s1
	v_add_co_u32 v58, s1, 0x800, v60
	v_add_co_ci_u32_e64 v59, s1, 0, v61, s1
	s_clause 0x4
	global_load_dword v105, v62, s[4:5] offset:1152
	global_load_dword v106, v62, s[4:5] offset:1728
	global_load_dword v107, v[58:59], off offset:256
	global_load_dword v108, v[58:59], off offset:832
	;; [unrolled: 1-line block ×3, first 2 shown]
	v_add_co_u32 v62, s1, 0x1000, v60
	v_add_co_ci_u32_e64 v63, s1, 0, v61, s1
	s_clause 0x2
	global_load_dword v110, v[58:59], off offset:1984
	global_load_dword v111, v66, s[4:5]
	global_load_dword v112, v[62:63], off offset:1088
	ds_read2_b32 v[64:65], v68 offset1:144
	s_waitcnt lgkmcnt(0)
	v_lshrrev_b32_e32 v66, 16, v64
	v_lshrrev_b32_e32 v97, 16, v65
	s_waitcnt vmcnt(9)
	v_mul_f16_sdwa v98, v66, v67 dst_sel:DWORD dst_unused:UNUSED_PAD src0_sel:DWORD src1_sel:WORD_1
	v_mul_f16_sdwa v99, v64, v67 dst_sel:DWORD dst_unused:UNUSED_PAD src0_sel:DWORD src1_sel:WORD_1
	s_waitcnt vmcnt(8)
	v_mul_f16_sdwa v100, v97, v96 dst_sel:DWORD dst_unused:UNUSED_PAD src0_sel:DWORD src1_sel:WORD_1
	v_mul_f16_sdwa v101, v65, v96 dst_sel:DWORD dst_unused:UNUSED_PAD src0_sel:DWORD src1_sel:WORD_1
	v_fma_f16 v64, v64, v67, -v98
	v_fmac_f16_e32 v99, v66, v67
	v_fma_f16 v65, v65, v96, -v100
	v_fmac_f16_e32 v101, v97, v96
	v_add_nc_u32_e32 v97, 0x800, v68
	v_add_nc_u32_e32 v98, 0xc00, v68
	v_pack_b32_f16 v66, v64, v99
	v_add_nc_u32_e32 v64, 0x400, v68
	v_pack_b32_f16 v65, v65, v101
	v_add_nc_u32_e32 v96, 0x1200, v68
	ds_write2_b32 v68, v66, v65 offset1:144
	ds_read2_b32 v[65:66], v64 offset0:32 offset1:176
	ds_read2_b32 v[99:100], v97 offset0:64 offset1:208
	ds_read2_b32 v[101:102], v98 offset0:96 offset1:240
	ds_read2_b32 v[103:104], v96 offset1:144
	s_waitcnt lgkmcnt(3)
	v_lshrrev_b32_e32 v67, 16, v65
	s_waitcnt vmcnt(7)
	v_mul_f16_sdwa v113, v65, v105 dst_sel:DWORD dst_unused:UNUSED_PAD src0_sel:DWORD src1_sel:WORD_1
	v_lshrrev_b32_e32 v114, 16, v66
	s_waitcnt vmcnt(6)
	v_mul_f16_sdwa v115, v66, v106 dst_sel:DWORD dst_unused:UNUSED_PAD src0_sel:DWORD src1_sel:WORD_1
	s_waitcnt lgkmcnt(2)
	v_lshrrev_b32_e32 v116, 16, v99
	s_waitcnt vmcnt(5)
	v_mul_f16_sdwa v117, v99, v107 dst_sel:DWORD dst_unused:UNUSED_PAD src0_sel:DWORD src1_sel:WORD_1
	v_lshrrev_b32_e32 v118, 16, v100
	s_waitcnt vmcnt(4)
	v_mul_f16_sdwa v119, v100, v108 dst_sel:DWORD dst_unused:UNUSED_PAD src0_sel:DWORD src1_sel:WORD_1
	;; [unrolled: 7-line block ×3, first 2 shown]
	s_waitcnt lgkmcnt(0)
	v_lshrrev_b32_e32 v124, 16, v103
	s_waitcnt vmcnt(1)
	v_mul_f16_sdwa v125, v103, v111 dst_sel:DWORD dst_unused:UNUSED_PAD src0_sel:DWORD src1_sel:WORD_1
	v_lshrrev_b32_e32 v126, 16, v104
	v_mul_f16_sdwa v128, v67, v105 dst_sel:DWORD dst_unused:UNUSED_PAD src0_sel:DWORD src1_sel:WORD_1
	v_fmac_f16_e32 v113, v67, v105
	v_mul_f16_sdwa v67, v114, v106 dst_sel:DWORD dst_unused:UNUSED_PAD src0_sel:DWORD src1_sel:WORD_1
	v_fmac_f16_e32 v115, v114, v106
	;; [unrolled: 2-line block ×5, first 2 shown]
	v_mul_f16_sdwa v120, v122, v110 dst_sel:DWORD dst_unused:UNUSED_PAD src0_sel:DWORD src1_sel:WORD_1
	s_waitcnt vmcnt(0)
	v_mul_f16_sdwa v127, v104, v112 dst_sel:DWORD dst_unused:UNUSED_PAD src0_sel:DWORD src1_sel:WORD_1
	v_fmac_f16_e32 v123, v122, v110
	v_mul_f16_sdwa v122, v124, v111 dst_sel:DWORD dst_unused:UNUSED_PAD src0_sel:DWORD src1_sel:WORD_1
	v_fmac_f16_e32 v125, v124, v111
	v_mul_f16_sdwa v124, v126, v112 dst_sel:DWORD dst_unused:UNUSED_PAD src0_sel:DWORD src1_sel:WORD_1
	v_fma_f16 v65, v65, v105, -v128
	v_fma_f16 v66, v66, v106, -v67
	;; [unrolled: 1-line block ×6, first 2 shown]
	v_fmac_f16_e32 v127, v126, v112
	v_fma_f16 v102, v103, v111, -v122
	v_fma_f16 v103, v104, v112, -v124
	v_pack_b32_f16 v65, v65, v113
	v_pack_b32_f16 v66, v66, v115
	;; [unrolled: 1-line block ×8, first 2 shown]
	ds_write2_b32 v64, v65, v66 offset0:32 offset1:176
	ds_write2_b32 v97, v67, v99 offset0:64 offset1:208
	;; [unrolled: 1-line block ×3, first 2 shown]
	ds_write2_b32 v96, v102, v103 offset1:144
	s_and_saveexec_b32 s1, vcc_lo
	s_cbranch_execz .LBB0_17
; %bb.16:
	s_clause 0x9
	global_load_dword v67, v[60:61], off offset:360
	global_load_dword v101, v[60:61], off offset:936
	;; [unrolled: 1-line block ×10, first 2 shown]
	v_add_nc_u32_e32 v110, 0x500, v68
	v_add_nc_u32_e32 v111, 0xa00, v68
	ds_read2_b32 v[58:59], v68 offset0:90 offset1:234
	v_add_nc_u32_e32 v112, 0xe00, v68
	ds_read2_b32 v[60:61], v96 offset0:90 offset1:234
	ds_read2_b32 v[62:63], v110 offset0:58 offset1:202
	;; [unrolled: 1-line block ×4, first 2 shown]
	s_waitcnt lgkmcnt(4)
	v_lshrrev_b32_e32 v113, 16, v58
	v_lshrrev_b32_e32 v114, 16, v59
	s_waitcnt lgkmcnt(2)
	v_lshrrev_b32_e32 v117, 16, v62
	v_lshrrev_b32_e32 v118, 16, v63
	s_waitcnt lgkmcnt(1)
	v_lshrrev_b32_e32 v119, 16, v65
	v_lshrrev_b32_e32 v120, 16, v66
	s_waitcnt lgkmcnt(0)
	v_lshrrev_b32_e32 v121, 16, v99
	v_lshrrev_b32_e32 v122, 16, v100
	v_lshrrev_b32_e32 v115, 16, v60
	v_lshrrev_b32_e32 v116, 16, v61
	s_waitcnt vmcnt(9)
	v_mul_f16_sdwa v123, v113, v67 dst_sel:DWORD dst_unused:UNUSED_PAD src0_sel:DWORD src1_sel:WORD_1
	v_mul_f16_sdwa v124, v58, v67 dst_sel:DWORD dst_unused:UNUSED_PAD src0_sel:DWORD src1_sel:WORD_1
	s_waitcnt vmcnt(8)
	v_mul_f16_sdwa v125, v114, v101 dst_sel:DWORD dst_unused:UNUSED_PAD src0_sel:DWORD src1_sel:WORD_1
	v_mul_f16_sdwa v126, v59, v101 dst_sel:DWORD dst_unused:UNUSED_PAD src0_sel:DWORD src1_sel:WORD_1
	;; [unrolled: 3-line block ×10, first 2 shown]
	v_fma_f16 v58, v58, v67, -v123
	v_fmac_f16_e32 v124, v113, v67
	v_fma_f16 v59, v59, v101, -v125
	v_fmac_f16_e32 v126, v114, v101
	v_fma_f16 v62, v62, v102, -v127
	v_fmac_f16_e32 v128, v117, v102
	v_fma_f16 v63, v63, v103, -v129
	v_fmac_f16_e32 v130, v118, v103
	v_fma_f16 v65, v65, v104, -v131
	v_fmac_f16_e32 v132, v119, v104
	v_fma_f16 v66, v66, v105, -v133
	v_fmac_f16_e32 v134, v120, v105
	v_fma_f16 v67, v99, v106, -v135
	v_fmac_f16_e32 v136, v121, v106
	v_fma_f16 v99, v100, v107, -v137
	v_fmac_f16_e32 v138, v122, v107
	v_fma_f16 v60, v60, v108, -v139
	v_fmac_f16_e32 v140, v115, v108
	v_fma_f16 v61, v61, v109, -v141
	v_fmac_f16_e32 v142, v116, v109
	v_pack_b32_f16 v58, v58, v124
	v_pack_b32_f16 v59, v59, v126
	;; [unrolled: 1-line block ×10, first 2 shown]
	ds_write2_b32 v68, v58, v59 offset0:90 offset1:234
	ds_write2_b32 v110, v62, v63 offset0:58 offset1:202
	;; [unrolled: 1-line block ×5, first 2 shown]
.LBB0_17:
	s_or_b32 exec_lo, exec_lo, s1
	s_waitcnt lgkmcnt(0)
	s_barrier
	buffer_gl0_inv
	ds_read2_b32 v[66:67], v68 offset1:144
	ds_read2_b32 v[64:65], v64 offset0:32 offset1:176
	ds_read2_b32 v[62:63], v97 offset0:64 offset1:208
	;; [unrolled: 1-line block ×3, first 2 shown]
	ds_read2_b32 v[58:59], v96 offset1:144
	s_and_saveexec_b32 s1, vcc_lo
	s_cbranch_execz .LBB0_19
; %bb.18:
	v_add_nc_u32_e32 v24, 0x500, v68
	v_add_nc_u32_e32 v25, 0xa00, v68
	;; [unrolled: 1-line block ×3, first 2 shown]
	ds_read2_b32 v[54:55], v68 offset0:90 offset1:234
	ds_read2_b32 v[56:57], v24 offset0:58 offset1:202
	v_add_nc_u32_e32 v24, 0x1200, v68
	ds_read2_b32 v[52:53], v25 offset0:26 offset1:170
	ds_read2_b32 v[50:51], v50 offset0:58 offset1:202
	;; [unrolled: 1-line block ×3, first 2 shown]
	s_waitcnt lgkmcnt(4)
	v_lshrrev_b32_e32 v93, 16, v54
	v_lshrrev_b32_e32 v89, 16, v55
	s_waitcnt lgkmcnt(3)
	v_lshrrev_b32_e32 v91, 16, v56
	v_lshrrev_b32_e32 v92, 16, v57
	;; [unrolled: 3-line block ×5, first 2 shown]
.LBB0_19:
	s_or_b32 exec_lo, exec_lo, s1
	s_waitcnt lgkmcnt(1)
	v_add_f16_e32 v96, v62, v60
	s_waitcnt lgkmcnt(0)
	v_sub_f16_sdwa v97, v64, v58 dst_sel:DWORD dst_unused:UNUSED_PAD src0_sel:WORD_1 src1_sel:WORD_1
	v_add_f16_e32 v99, v64, v58
	v_pk_add_f16 v122, v66, v64
	v_sub_f16_sdwa v98, v62, v60 dst_sel:DWORD dst_unused:UNUSED_PAD src0_sel:WORD_1 src1_sel:WORD_1
	v_fma_f16 v96, -0.5, v96, v66
	v_sub_f16_e32 v100, v58, v60
	v_sub_f16_e32 v101, v64, v62
	;; [unrolled: 1-line block ×3, first 2 shown]
	v_fma_f16 v99, -0.5, v99, v66
	v_fmamk_f16 v103, v97, 0xbb9c, v96
	v_sub_f16_e32 v104, v62, v64
	v_add_f16_sdwa v105, v62, v60 dst_sel:DWORD dst_unused:UNUSED_PAD src0_sel:WORD_1 src1_sel:WORD_1
	v_fmac_f16_e32 v96, 0x3b9c, v97
	v_lshrrev_b32_e32 v66, 16, v66
	v_fmamk_f16 v106, v98, 0x3b9c, v99
	v_fmac_f16_e32 v103, 0xb8b4, v98
	v_add_f16_e32 v100, v101, v100
	v_fmac_f16_e32 v96, 0x38b4, v98
	v_add_f16_e32 v101, v104, v102
	v_fma_f16 v102, -0.5, v105, v66
	v_sub_f16_e32 v104, v64, v58
	v_fmac_f16_e32 v99, 0xbb9c, v98
	v_add_f16_sdwa v107, v64, v58 dst_sel:DWORD dst_unused:UNUSED_PAD src0_sel:WORD_1 src1_sel:WORD_1
	v_fmac_f16_e32 v106, 0xb8b4, v97
	v_fmac_f16_e32 v103, 0x34f2, v100
	;; [unrolled: 1-line block ×3, first 2 shown]
	v_fmamk_f16 v98, v104, 0x3b9c, v102
	v_sub_f16_e32 v100, v62, v60
	v_sub_f16_sdwa v105, v64, v62 dst_sel:DWORD dst_unused:UNUSED_PAD src0_sel:WORD_1 src1_sel:WORD_1
	v_sub_f16_sdwa v108, v58, v60 dst_sel:DWORD dst_unused:UNUSED_PAD src0_sel:WORD_1 src1_sel:WORD_1
	v_fmac_f16_e32 v102, 0xbb9c, v104
	v_fmac_f16_e32 v99, 0x38b4, v97
	v_fmac_f16_e32 v66, -0.5, v107
	v_sub_f16_sdwa v64, v62, v64 dst_sel:DWORD dst_unused:UNUSED_PAD src0_sel:WORD_1 src1_sel:WORD_1
	v_sub_f16_sdwa v107, v60, v58 dst_sel:DWORD dst_unused:UNUSED_PAD src0_sel:WORD_1 src1_sel:WORD_1
	v_fmac_f16_e32 v106, 0x34f2, v101
	v_fmac_f16_e32 v98, 0x38b4, v100
	v_add_f16_e32 v97, v105, v108
	v_fmac_f16_e32 v102, 0xb8b4, v100
	v_add_f16_e32 v105, v63, v61
	v_fmac_f16_e32 v99, 0x34f2, v101
	v_fmamk_f16 v101, v100, 0xbb9c, v66
	v_fmac_f16_e32 v66, 0x3b9c, v100
	v_sub_f16_e32 v109, v59, v61
	v_sub_f16_e32 v110, v65, v63
	v_add_f16_e32 v64, v64, v107
	v_add_f16_e32 v107, v65, v59
	v_fmac_f16_e32 v98, 0x34f2, v97
	v_fmac_f16_e32 v102, 0x34f2, v97
	v_fma_f16 v97, -0.5, v105, v67
	v_fmac_f16_e32 v101, 0x38b4, v104
	v_fmac_f16_e32 v66, 0xb8b4, v104
	v_add_f16_e32 v104, v110, v109
	v_fma_f16 v107, -0.5, v107, v67
	v_pk_add_f16 v123, v67, v65
	v_add_f16_sdwa v109, v63, v61 dst_sel:DWORD dst_unused:UNUSED_PAD src0_sel:WORD_1 src1_sel:WORD_1
	v_lshrrev_b32_e32 v67, 16, v67
	v_sub_f16_e32 v110, v61, v59
	v_sub_f16_e32 v111, v63, v65
	v_add_f16_sdwa v112, v65, v59 dst_sel:DWORD dst_unused:UNUSED_PAD src0_sel:WORD_1 src1_sel:WORD_1
	v_sub_f16_sdwa v105, v65, v59 dst_sel:DWORD dst_unused:UNUSED_PAD src0_sel:WORD_1 src1_sel:WORD_1
	v_fma_f16 v109, -0.5, v109, v67
	v_sub_f16_sdwa v108, v63, v61 dst_sel:DWORD dst_unused:UNUSED_PAD src0_sel:WORD_1 src1_sel:WORD_1
	v_add_f16_e32 v110, v111, v110
	v_sub_f16_e32 v111, v63, v61
	v_fmac_f16_e32 v67, -0.5, v112
	v_sub_f16_e32 v113, v65, v59
	v_sub_f16_sdwa v114, v65, v63 dst_sel:DWORD dst_unused:UNUSED_PAD src0_sel:WORD_1 src1_sel:WORD_1
	v_sub_f16_sdwa v65, v63, v65 dst_sel:DWORD dst_unused:UNUSED_PAD src0_sel:WORD_1 src1_sel:WORD_1
	;; [unrolled: 1-line block ×3, first 2 shown]
	v_fmamk_f16 v116, v111, 0xbb9c, v67
	v_fmac_f16_e32 v67, 0x3b9c, v111
	v_fmac_f16_e32 v101, 0x34f2, v64
	;; [unrolled: 1-line block ×3, first 2 shown]
	v_fmamk_f16 v64, v108, 0x3b9c, v107
	v_fmac_f16_e32 v107, 0xbb9c, v108
	v_fmamk_f16 v112, v113, 0x3b9c, v109
	v_sub_f16_sdwa v115, v59, v61 dst_sel:DWORD dst_unused:UNUSED_PAD src0_sel:WORD_1 src1_sel:WORD_1
	v_fmac_f16_e32 v116, 0x38b4, v113
	v_add_f16_e32 v65, v65, v117
	v_fmac_f16_e32 v67, 0xb8b4, v113
	v_fmac_f16_e32 v109, 0xbb9c, v113
	v_fmamk_f16 v100, v105, 0xbb9c, v97
	v_fmac_f16_e32 v97, 0x3b9c, v105
	v_fmac_f16_e32 v64, 0xb8b4, v105
	v_add_f16_e32 v114, v114, v115
	v_fmac_f16_e32 v107, 0x38b4, v105
	v_fmac_f16_e32 v116, 0x34f2, v65
	;; [unrolled: 1-line block ×7, first 2 shown]
	v_mul_f16_e32 v110, 0xbb9c, v67
	v_fmac_f16_e32 v97, 0x38b4, v108
	v_fmac_f16_e32 v109, 0x34f2, v114
	v_mul_f16_e32 v108, 0x34f2, v116
	v_fmac_f16_e32 v100, 0x34f2, v104
	v_fmac_f16_e32 v112, 0x38b4, v111
	;; [unrolled: 1-line block ×4, first 2 shown]
	v_mul_f16_e32 v104, 0xb8b4, v109
	v_mul_f16_e32 v109, 0xba79, v109
	v_fmac_f16_e32 v108, 0x3b9c, v64
	v_fmac_f16_e32 v112, 0x34f2, v114
	v_add_f16_e32 v125, v99, v110
	v_sub_f16_e32 v134, v99, v110
	v_fmac_f16_e32 v109, 0x38b4, v97
	v_add_f16_e32 v128, v101, v108
	v_sub_f16_e32 v137, v101, v108
	v_sub_f16_e32 v99, v52, v56
	;; [unrolled: 1-line block ×3, first 2 shown]
	v_mul_f16_e32 v65, 0xb8b4, v112
	v_mul_f16_e32 v67, 0xb4f2, v67
	v_add_f16_e32 v131, v102, v109
	v_sub_f16_e32 v139, v102, v109
	v_add_f16_e32 v109, v101, v99
	v_add_f16_e32 v99, v51, v53
	v_fmac_f16_e32 v65, 0x3a79, v100
	v_mul_f16_e32 v100, 0x38b4, v100
	v_fmac_f16_e32 v67, 0x3b9c, v107
	v_sub_f16_e32 v101, v91, v90
	v_fma_f16 v107, -0.5, v99, v55
	v_sub_f16_e32 v99, v83, v95
	v_fmac_f16_e32 v100, 0x3a79, v112
	v_sub_f16_e32 v110, v90, v91
	v_sub_f16_e32 v112, v95, v83
	v_mul_f16_e32 v105, 0xbb9c, v116
	v_add_f16_e32 v114, v99, v101
	v_add_f16_e32 v101, v25, v57
	v_add_f16_e32 v99, v88, v94
	v_add_f16_e32 v115, v112, v110
	v_fmac_f16_e32 v105, 0x34f2, v64
	v_fmac_f16_e32 v104, 0xba79, v97
	v_fma_f16 v110, -0.5, v101, v55
	v_add_f16_e32 v101, v82, v92
	v_add_f16_e32 v64, v50, v52
	;; [unrolled: 1-line block ×3, first 2 shown]
	v_fma_f16 v116, -0.5, v99, v89
	v_sub_f16_e32 v112, v57, v25
	v_sub_f16_e32 v99, v57, v53
	v_sub_f16_e32 v117, v25, v51
	v_sub_f16_e32 v118, v53, v51
	v_fma_f16 v113, -0.5, v101, v89
	v_add_f16_e32 v124, v106, v105
	v_add_f16_e32 v130, v96, v104
	;; [unrolled: 1-line block ×4, first 2 shown]
	v_sub_f16_e32 v133, v106, v105
	v_sub_f16_e32 v135, v96, v104
	;; [unrolled: 1-line block ×3, first 2 shown]
	v_fma_f16 v96, -0.5, v64, v54
	v_add_f16_e32 v64, v24, v56
	v_sub_f16_e32 v138, v66, v67
	v_sub_f16_e32 v67, v56, v52
	;; [unrolled: 1-line block ×3, first 2 shown]
	v_fma_f16 v100, -0.5, v97, v93
	v_add_f16_e32 v97, v83, v91
	v_sub_f16_e32 v105, v92, v82
	v_sub_f16_e32 v108, v94, v88
	v_fmamk_f16 v141, v112, 0x3b9c, v116
	v_sub_f16_e32 v119, v92, v94
	v_sub_f16_e32 v121, v82, v88
	v_add_f16_e32 v120, v117, v99
	v_fmamk_f16 v143, v118, 0xbb9c, v113
	v_sub_f16_e32 v99, v94, v92
	v_sub_f16_e32 v101, v88, v82
	v_add_f16_e32 v126, v103, v65
	v_sub_f16_e32 v132, v103, v65
	v_sub_f16_e32 v103, v91, v83
	;; [unrolled: 1-line block ×3, first 2 shown]
	v_fma_f16 v66, -0.5, v64, v54
	v_sub_f16_e32 v102, v56, v24
	v_add_f16_e32 v111, v98, v67
	v_sub_f16_e32 v106, v52, v50
	v_fma_f16 v98, -0.5, v97, v93
	v_fmamk_f16 v140, v105, 0xbb9c, v107
	v_fmamk_f16 v142, v108, 0x3b9c, v110
	v_fmac_f16_e32 v141, 0x38b4, v118
	v_add_f16_e32 v121, v121, v119
	v_sub_f16_e32 v119, v53, v57
	v_sub_f16_e32 v144, v51, v25
	v_fmac_f16_e32 v143, 0x38b4, v112
	v_add_f16_e32 v117, v101, v99
	v_fmamk_f16 v64, v103, 0xbb9c, v96
	v_fmamk_f16 v65, v104, 0x3b9c, v66
	;; [unrolled: 1-line block ×4, first 2 shown]
	v_fmac_f16_e32 v140, 0xb8b4, v108
	v_fmac_f16_e32 v141, 0x34f2, v121
	;; [unrolled: 1-line block ×3, first 2 shown]
	v_add_f16_e32 v119, v144, v119
	v_fmac_f16_e32 v143, 0x34f2, v117
	v_pk_add_f16 v122, v122, v62
	v_pk_add_f16 v123, v123, v63
	v_fmac_f16_e32 v64, 0xb8b4, v104
	v_fmac_f16_e32 v65, 0xb8b4, v103
	;; [unrolled: 1-line block ×5, first 2 shown]
	v_mul_f16_e32 v99, 0xb8b4, v141
	v_fmac_f16_e32 v142, 0x34f2, v119
	v_mul_f16_e32 v101, 0xbb9c, v143
	v_mul_f16_e32 v62, 0x3a79, v141
	;; [unrolled: 1-line block ×3, first 2 shown]
	v_pk_add_f16 v122, v122, v60
	v_pk_add_f16 v61, v123, v61
	v_fmac_f16_e32 v64, 0x34f2, v111
	v_fmac_f16_e32 v65, 0x34f2, v109
	;; [unrolled: 1-line block ×8, first 2 shown]
	v_pk_add_f16 v140, v122, v58
	v_pk_add_f16 v141, v61, v59
	v_sub_f16_e32 v60, v64, v99
	v_sub_f16_e32 v58, v65, v101
	;; [unrolled: 1-line block ×4, first 2 shown]
	v_pk_add_f16 v122, v140, v141
	v_pack_b32_f16 v125, v125, v129
	v_pack_b32_f16 v124, v124, v128
	;; [unrolled: 1-line block ×3, first 2 shown]
	v_pk_add_f16 v127, v140, v141 neg_lo:[0,1] neg_hi:[0,1]
	v_pack_b32_f16 v129, v133, v137
	v_pack_b32_f16 v128, v132, v136
	;; [unrolled: 1-line block ×5, first 2 shown]
	s_barrier
	buffer_gl0_inv
	ds_write2_b64 v84, v[122:123], v[124:125] offset1:1
	ds_write2_b64 v84, v[126:127], v[128:129] offset0:2 offset1:3
	ds_write_b64 v84, v[130:131] offset:32
	s_and_saveexec_b32 s1, vcc_lo
	s_cbranch_execz .LBB0_21
; %bb.20:
	v_mul_f16_e32 v123, 0x3b9c, v102
	v_mul_f16_e32 v125, 0x3b9c, v112
	;; [unrolled: 1-line block ×6, first 2 shown]
	v_sub_f16_e32 v116, v116, v125
	v_mul_f16_e32 v125, 0x38b4, v108
	v_sub_f16_e32 v100, v100, v123
	v_mul_f16_e32 v108, 0x3b9c, v108
	v_mul_f16_e32 v112, 0x38b4, v112
	v_add_f16_e32 v113, v118, v113
	v_mul_f16_e32 v122, 0x38b4, v104
	v_mul_f16_e32 v104, 0x3b9c, v104
	;; [unrolled: 1-line block ×5, first 2 shown]
	v_add_f16_e32 v107, v126, v107
	v_sub_f16_e32 v116, v116, v127
	v_sub_f16_e32 v100, v100, v124
	v_mul_f16_e32 v105, 0x38b4, v105
	v_mul_f16_e32 v117, 0x34f2, v117
	v_sub_f16_e32 v108, v110, v108
	v_sub_f16_e32 v110, v113, v112
	v_add_f16_e32 v91, v91, v93
	v_add_f16_e32 v89, v92, v89
	;; [unrolled: 1-line block ×4, first 2 shown]
	v_mul_f16_e32 v84, 0x3b9c, v103
	v_mul_f16_e32 v103, 0x38b4, v103
	;; [unrolled: 1-line block ×4, first 2 shown]
	v_add_f16_e32 v107, v125, v107
	v_add_f16_e32 v116, v121, v116
	;; [unrolled: 1-line block ×3, first 2 shown]
	v_mul_f16_e32 v114, 0x34f2, v119
	v_add_f16_e32 v93, v106, v98
	v_add_f16_e32 v98, v105, v108
	;; [unrolled: 1-line block ×5, first 2 shown]
	v_sub_f16_e32 v57, v66, v104
	v_add_f16_e32 v52, v52, v54
	v_add_f16_e32 v53, v53, v55
	;; [unrolled: 1-line block ×3, first 2 shown]
	v_mul_f16_e32 v109, 0x34f2, v109
	v_mul_f16_e32 v115, 0x34f2, v115
	v_add_f16_e32 v107, v120, v107
	v_sub_f16_e32 v91, v93, v102
	v_add_f16_e32 v92, v114, v98
	v_mul_f16_e32 v93, 0xb4f2, v105
	v_add_f16_e32 v90, v95, v90
	v_add_f16_e32 v88, v88, v89
	v_mul_f16_e32 v54, 0x38b4, v116
	v_add_f16_e32 v55, v103, v57
	v_mul_f16_e32 v57, 0x3b9c, v105
	v_add_f16_e32 v50, v50, v52
	v_add_f16_e32 v51, v51, v53
	v_mul_f16_e32 v111, 0x34f2, v111
	v_mul_f16_e32 v120, 0xba79, v116
	v_add_f16_e32 v84, v122, v84
	v_add_f16_e32 v91, v115, v91
	v_fmac_f16_e32 v93, 0x3b9c, v92
	v_add_f16_e32 v83, v83, v90
	v_add_f16_e32 v56, v82, v88
	v_fma_f16 v52, v107, 0xba79, -v54
	v_add_f16_e32 v53, v109, v55
	v_fma_f16 v54, v92, 0xb4f2, -v57
	v_add_f16_e32 v24, v24, v50
	v_add_f16_e32 v25, v25, v51
	v_fmac_f16_e32 v120, 0x38b4, v107
	v_add_f16_e32 v66, v111, v84
	v_sub_f16_e32 v84, v53, v54
	v_add_f16_e32 v50, v91, v93
	v_sub_f16_e32 v88, v24, v25
	v_add_f16_e32 v63, v97, v63
	v_add_f16_e32 v62, v67, v62
	;; [unrolled: 1-line block ×7, first 2 shown]
	v_sub_f16_e32 v55, v83, v56
	v_sub_f16_e32 v57, v66, v52
	v_add_f16_e32 v89, v100, v120
	v_add_f16_e32 v52, v66, v52
	v_sub_f16_e32 v112, v100, v120
	v_sub_f16_e32 v82, v91, v93
	v_lshlrev_b32_e32 v64, 2, v81
	v_pack_b32_f16 v24, v24, v51
	v_pack_b32_f16 v51, v25, v50
	;; [unrolled: 1-line block ×6, first 2 shown]
	v_perm_b32 v55, v59, v58, 0x5040100
	v_perm_b32 v54, v61, v60, 0x5040100
	v_pack_b32_f16 v57, v57, v112
	v_pack_b32_f16 v56, v84, v82
	ds_write2_b64 v64, v[24:25], v[50:51] offset1:1
	ds_write2_b64 v64, v[52:53], v[54:55] offset0:2 offset1:3
	ds_write_b64 v64, v[56:57] offset:32
.LBB0_21:
	s_or_b32 exec_lo, exec_lo, s1
	v_add_nc_u32_e32 v81, 0x200, v68
	s_waitcnt lgkmcnt(0)
	s_barrier
	buffer_gl0_inv
	ds_read2_b32 v[24:25], v68 offset1:90
	ds_read2_b32 v[50:51], v81 offset0:52 offset1:142
	v_add_nc_u32_e32 v82, 0x400, v68
	v_add_nc_u32_e32 v83, 0x800, v68
	;; [unrolled: 1-line block ×5, first 2 shown]
	ds_read2_b32 v[52:53], v82 offset0:104 offset1:194
	ds_read2_b32 v[54:55], v83 offset0:28 offset1:118
	;; [unrolled: 1-line block ×4, first 2 shown]
	v_add_nc_u32_e32 v66, 0x1200, v68
	ds_read2_b32 v[64:65], v88 offset0:56 offset1:146
	ds_read2_b32 v[66:67], v66 offset0:108 offset1:198
	s_waitcnt lgkmcnt(0)
	s_barrier
	buffer_gl0_inv
	v_lshrrev_b32_e32 v90, 16, v25
	v_lshrrev_b32_e32 v91, 16, v50
	;; [unrolled: 1-line block ×3, first 2 shown]
	v_mul_f16_sdwa v106, v8, v25 dst_sel:DWORD dst_unused:UNUSED_PAD src0_sel:WORD_1 src1_sel:DWORD
	v_lshrrev_b32_e32 v89, 16, v24
	v_mul_f16_sdwa v103, v8, v90 dst_sel:DWORD dst_unused:UNUSED_PAD src0_sel:WORD_1 src1_sel:DWORD
	v_mul_f16_sdwa v107, v9, v91 dst_sel:DWORD dst_unused:UNUSED_PAD src0_sel:WORD_1 src1_sel:DWORD
	v_lshrrev_b32_e32 v93, 16, v52
	v_mul_f16_sdwa v108, v10, v92 dst_sel:DWORD dst_unused:UNUSED_PAD src0_sel:WORD_1 src1_sel:DWORD
	v_lshrrev_b32_e32 v94, 16, v53
	v_fmac_f16_e32 v103, v8, v25
	v_mul_f16_sdwa v25, v9, v50 dst_sel:DWORD dst_unused:UNUSED_PAD src0_sel:WORD_1 src1_sel:DWORD
	v_lshrrev_b32_e32 v95, 16, v54
	v_fmac_f16_e32 v107, v9, v50
	v_mul_f16_sdwa v50, v10, v51 dst_sel:DWORD dst_unused:UNUSED_PAD src0_sel:WORD_1 src1_sel:DWORD
	v_fmac_f16_e32 v108, v10, v51
	v_fma_f16 v9, v9, v91, -v25
	v_mul_f16_sdwa v25, v11, v93 dst_sel:DWORD dst_unused:UNUSED_PAD src0_sel:WORD_1 src1_sel:DWORD
	v_mul_f16_sdwa v51, v11, v52 dst_sel:DWORD dst_unused:UNUSED_PAD src0_sel:WORD_1 src1_sel:DWORD
	v_lshrrev_b32_e32 v96, 16, v55
	v_lshrrev_b32_e32 v97, 16, v56
	v_fma_f16 v8, v8, v90, -v106
	v_fma_f16 v10, v10, v92, -v50
	v_mul_f16_sdwa v50, v4, v94 dst_sel:DWORD dst_unused:UNUSED_PAD src0_sel:WORD_1 src1_sel:DWORD
	v_mul_f16_sdwa v90, v4, v53 dst_sel:DWORD dst_unused:UNUSED_PAD src0_sel:WORD_1 src1_sel:DWORD
	v_fmac_f16_e32 v25, v11, v52
	v_fma_f16 v11, v11, v93, -v51
	v_mul_f16_sdwa v51, v5, v95 dst_sel:DWORD dst_unused:UNUSED_PAD src0_sel:WORD_1 src1_sel:DWORD
	v_mul_f16_sdwa v52, v5, v54 dst_sel:DWORD dst_unused:UNUSED_PAD src0_sel:WORD_1 src1_sel:DWORD
	v_lshrrev_b32_e32 v98, 16, v57
	v_lshrrev_b32_e32 v99, 16, v62
	v_fmac_f16_e32 v50, v4, v53
	v_fma_f16 v4, v4, v94, -v90
	v_mul_f16_sdwa v53, v6, v96 dst_sel:DWORD dst_unused:UNUSED_PAD src0_sel:WORD_1 src1_sel:DWORD
	v_fmac_f16_e32 v51, v5, v54
	v_mul_f16_sdwa v54, v6, v55 dst_sel:DWORD dst_unused:UNUSED_PAD src0_sel:WORD_1 src1_sel:DWORD
	v_mul_f16_sdwa v90, v7, v97 dst_sel:DWORD dst_unused:UNUSED_PAD src0_sel:WORD_1 src1_sel:DWORD
	v_fma_f16 v5, v5, v95, -v52
	v_mul_f16_sdwa v52, v7, v56 dst_sel:DWORD dst_unused:UNUSED_PAD src0_sel:WORD_1 src1_sel:DWORD
	v_lshrrev_b32_e32 v101, 16, v64
	v_fmac_f16_e32 v53, v6, v55
	v_fma_f16 v6, v6, v96, -v54
	v_fmac_f16_e32 v90, v7, v56
	v_mul_f16_sdwa v54, v0, v98 dst_sel:DWORD dst_unused:UNUSED_PAD src0_sel:WORD_1 src1_sel:DWORD
	v_fma_f16 v7, v7, v97, -v52
	v_mul_f16_sdwa v52, v1, v99 dst_sel:DWORD dst_unused:UNUSED_PAD src0_sel:WORD_1 src1_sel:DWORD
	v_lshrrev_b32_e32 v100, 16, v63
	v_lshrrev_b32_e32 v104, 16, v66
	v_mul_f16_sdwa v55, v0, v57 dst_sel:DWORD dst_unused:UNUSED_PAD src0_sel:WORD_1 src1_sel:DWORD
	v_mul_f16_sdwa v56, v1, v62 dst_sel:DWORD dst_unused:UNUSED_PAD src0_sel:WORD_1 src1_sel:DWORD
	v_fmac_f16_e32 v54, v0, v57
	v_fmac_f16_e32 v52, v1, v62
	v_mul_f16_sdwa v57, v3, v101 dst_sel:DWORD dst_unused:UNUSED_PAD src0_sel:WORD_1 src1_sel:DWORD
	v_mul_f16_sdwa v62, v3, v64 dst_sel:DWORD dst_unused:UNUSED_PAD src0_sel:WORD_1 src1_sel:DWORD
	v_lshrrev_b32_e32 v102, 16, v65
	v_fma_f16 v0, v0, v98, -v55
	v_mul_f16_sdwa v55, v2, v100 dst_sel:DWORD dst_unused:UNUSED_PAD src0_sel:WORD_1 src1_sel:DWORD
	v_fma_f16 v1, v1, v99, -v56
	v_mul_f16_sdwa v56, v2, v63 dst_sel:DWORD dst_unused:UNUSED_PAD src0_sel:WORD_1 src1_sel:DWORD
	v_fmac_f16_e32 v57, v3, v64
	v_fma_f16 v3, v3, v101, -v62
	v_mul_f16_sdwa v62, v13, v104 dst_sel:DWORD dst_unused:UNUSED_PAD src0_sel:WORD_1 src1_sel:DWORD
	v_mul_f16_sdwa v64, v13, v66 dst_sel:DWORD dst_unused:UNUSED_PAD src0_sel:WORD_1 src1_sel:DWORD
	v_lshrrev_b32_e32 v105, 16, v67
	v_fmac_f16_e32 v55, v2, v63
	v_mul_f16_sdwa v63, v12, v102 dst_sel:DWORD dst_unused:UNUSED_PAD src0_sel:WORD_1 src1_sel:DWORD
	v_fma_f16 v2, v2, v100, -v56
	v_mul_f16_sdwa v56, v12, v65 dst_sel:DWORD dst_unused:UNUSED_PAD src0_sel:WORD_1 src1_sel:DWORD
	v_fmac_f16_e32 v62, v13, v66
	v_fma_f16 v13, v13, v104, -v64
	v_fmac_f16_e32 v63, v12, v65
	v_mul_f16_sdwa v65, v14, v67 dst_sel:DWORD dst_unused:UNUSED_PAD src0_sel:WORD_1 src1_sel:DWORD
	v_fma_f16 v12, v12, v102, -v56
	v_mul_f16_sdwa v56, v14, v105 dst_sel:DWORD dst_unused:UNUSED_PAD src0_sel:WORD_1 src1_sel:DWORD
	v_sub_f16_e32 v64, v24, v90
	v_sub_f16_e32 v7, v89, v7
	;; [unrolled: 1-line block ×8, first 2 shown]
	v_fmac_f16_e32 v56, v14, v67
	v_fma_f16 v14, v14, v105, -v65
	v_fma_f16 v24, v24, 2.0, -v64
	v_fma_f16 v65, v89, 2.0, -v7
	;; [unrolled: 1-line block ×8, first 2 shown]
	v_sub_f16_e32 v25, v24, v25
	v_sub_f16_e32 v11, v65, v11
	v_add_f16_e32 v3, v64, v3
	v_sub_f16_e32 v51, v66, v51
	v_sub_f16_e32 v5, v9, v5
	v_add_f16_e32 v13, v52, v13
	v_sub_f16_e32 v54, v103, v54
	v_sub_f16_e32 v63, v50, v63
	;; [unrolled: 1-line block ×8, first 2 shown]
	v_fma_f16 v24, v24, 2.0, -v25
	v_fma_f16 v65, v65, 2.0, -v11
	;; [unrolled: 1-line block ×4, first 2 shown]
	v_sub_f16_e32 v62, v1, v62
	v_fma_f16 v9, v9, 2.0, -v5
	v_fma_f16 v52, v52, 2.0, -v13
	v_sub_f16_e32 v0, v8, v0
	v_fma_f16 v67, v103, 2.0, -v54
	v_fma_f16 v50, v50, 2.0, -v63
	;; [unrolled: 1-line block ×8, first 2 shown]
	v_add_f16_e32 v12, v54, v12
	v_add_f16_e32 v14, v55, v14
	v_sub_f16_e32 v56, v2, v56
	v_fmamk_f16 v90, v52, 0xb9a8, v64
	v_sub_f16_e32 v66, v24, v66
	v_sub_f16_e32 v9, v65, v9
	v_fma_f16 v10, v10, 2.0, -v2
	v_sub_f16_e32 v50, v67, v50
	v_sub_f16_e32 v63, v0, v63
	;; [unrolled: 1-line block ×3, first 2 shown]
	v_fma_f16 v54, v54, 2.0, -v12
	v_fma_f16 v55, v55, 2.0, -v14
	v_fmamk_f16 v91, v1, 0xb9a8, v7
	v_fmac_f16_e32 v90, 0x39a8, v1
	v_fma_f16 v1, v2, 2.0, -v56
	v_fma_f16 v2, v24, 2.0, -v66
	;; [unrolled: 1-line block ×3, first 2 shown]
	v_fmamk_f16 v65, v62, 0x39a8, v57
	v_fma_f16 v8, v8, 2.0, -v0
	v_fma_f16 v67, v67, 2.0, -v50
	;; [unrolled: 1-line block ×4, first 2 shown]
	v_fmac_f16_e32 v91, 0xb9a8, v52
	v_fma_f16 v52, v64, 2.0, -v90
	v_fmamk_f16 v64, v13, 0x39a8, v3
	v_fmac_f16_e32 v65, 0xb9a8, v13
	v_fmamk_f16 v13, v55, 0xb9a8, v54
	v_sub_f16_e32 v6, v10, v6
	v_sub_f16_e32 v4, v8, v4
	v_fmac_f16_e32 v64, 0x39a8, v62
	v_sub_f16_e32 v62, v67, v89
	v_fmamk_f16 v89, v1, 0xb9a8, v0
	v_fmac_f16_e32 v13, 0x39a8, v1
	v_fma_f16 v10, v10, 2.0, -v6
	v_add_f16_e32 v5, v25, v5
	v_fma_f16 v1, v57, 2.0, -v65
	v_fma_f16 v57, v67, 2.0, -v62
	v_fmac_f16_e32 v89, 0xb9a8, v55
	v_fma_f16 v54, v54, 2.0, -v13
	v_fmamk_f16 v55, v14, 0x39a8, v12
	v_add_f16_e32 v6, v50, v6
	v_fmamk_f16 v67, v56, 0x39a8, v63
	v_fma_f16 v8, v8, 2.0, -v4
	v_sub_f16_e32 v51, v11, v51
	v_fma_f16 v7, v7, 2.0, -v91
	v_fma_f16 v25, v25, 2.0, -v5
	v_sub_f16_e32 v53, v4, v53
	v_fma_f16 v0, v0, 2.0, -v89
	v_fmac_f16_e32 v55, 0x39a8, v56
	v_fma_f16 v50, v50, 2.0, -v6
	v_fmac_f16_e32 v67, 0xb9a8, v14
	v_sub_f16_e32 v56, v2, v57
	v_fmamk_f16 v57, v54, 0xbb64, v52
	v_fma_f16 v11, v11, 2.0, -v51
	v_sub_f16_e32 v10, v8, v10
	v_fma_f16 v4, v4, 2.0, -v53
	v_fma_f16 v14, v63, 2.0, -v67
	v_fmamk_f16 v63, v0, 0xbb64, v7
	v_fmac_f16_e32 v57, 0x361f, v0
	v_fmamk_f16 v0, v50, 0xb9a8, v25
	v_fma_f16 v3, v3, 2.0, -v64
	v_fma_f16 v8, v8, 2.0, -v10
	;; [unrolled: 1-line block ×3, first 2 shown]
	v_fmamk_f16 v93, v4, 0xb9a8, v11
	v_fmac_f16_e32 v0, 0x39a8, v4
	v_fmamk_f16 v4, v14, 0xb61f, v1
	v_sub_f16_e32 v8, v24, v8
	v_fmac_f16_e32 v63, 0xb61f, v54
	v_fmamk_f16 v54, v12, 0xb61f, v3
	v_fmac_f16_e32 v93, 0xb9a8, v50
	v_fmac_f16_e32 v4, 0xbb64, v12
	v_sub_f16_e32 v12, v9, v62
	v_fmamk_f16 v50, v13, 0x361f, v90
	v_fmamk_f16 v62, v89, 0x361f, v91
	v_fma_f16 v92, v24, 2.0, -v8
	v_fmac_f16_e32 v54, 0x3b64, v14
	v_fmamk_f16 v14, v55, 0x3b64, v64
	v_fmac_f16_e32 v50, 0x3b64, v89
	v_fmac_f16_e32 v62, 0xbb64, v13
	v_fmamk_f16 v13, v6, 0x39a8, v5
	v_fmamk_f16 v89, v53, 0x39a8, v51
	;; [unrolled: 1-line block ×3, first 2 shown]
	v_add_f16_e32 v10, v66, v10
	v_fma_f16 v2, v2, 2.0, -v56
	v_fma_f16 v52, v52, 2.0, -v57
	;; [unrolled: 1-line block ×3, first 2 shown]
	v_fmac_f16_e32 v13, 0x39a8, v53
	v_fmac_f16_e32 v89, 0xb9a8, v6
	v_fmac_f16_e32 v14, 0x361f, v67
	v_fmac_f16_e32 v24, 0xb61f, v55
	v_fma_f16 v25, v25, 2.0, -v0
	v_fma_f16 v11, v11, 2.0, -v93
	;; [unrolled: 1-line block ×12, first 2 shown]
	v_pack_b32_f16 v2, v2, v92
	v_pack_b32_f16 v7, v52, v7
	;; [unrolled: 1-line block ×6, first 2 shown]
	ds_write2_b32 v80, v2, v7 offset1:10
	ds_write2_b32 v80, v11, v1 offset0:20 offset1:30
	ds_write2_b32 v80, v3, v6 offset0:40 offset1:50
	v_pack_b32_f16 v1, v5, v51
	v_pack_b32_f16 v2, v53, v55
	;; [unrolled: 1-line block ×10, first 2 shown]
	ds_write2_b32 v80, v1, v2 offset0:60 offset1:70
	ds_write2_b32 v80, v3, v5 offset0:80 offset1:90
	;; [unrolled: 1-line block ×5, first 2 shown]
	v_add_nc_u32_e32 v2, 0xe00, v68
	s_waitcnt lgkmcnt(0)
	s_barrier
	buffer_gl0_inv
	ds_read2_b32 v[4:5], v68 offset1:90
	ds_read2_b32 v[0:1], v82 offset0:104 offset1:224
	ds_read2_b32 v[12:13], v2 offset0:64 offset1:154
	;; [unrolled: 1-line block ×6, first 2 shown]
	ds_read_b32 v25, v68 offset:5280
	s_and_saveexec_b32 s1, s0
	s_cbranch_execz .LBB0_23
; %bb.22:
	ds_read_b32 v14, v68 offset:1800
	ds_read_b32 v60, v68 offset:3720
	;; [unrolled: 1-line block ×3, first 2 shown]
	s_waitcnt lgkmcnt(2)
	v_lshrrev_b32_e32 v24, 16, v14
	s_waitcnt lgkmcnt(1)
	v_lshrrev_b32_e32 v61, 16, v60
	;; [unrolled: 2-line block ×3, first 2 shown]
.LBB0_23:
	s_or_b32 exec_lo, exec_lo, s1
	s_waitcnt lgkmcnt(6)
	v_lshrrev_b32_e32 v51, 16, v1
	s_waitcnt lgkmcnt(5)
	v_lshrrev_b32_e32 v52, 16, v12
	;; [unrolled: 2-line block ×3, first 2 shown]
	v_lshrrev_b32_e32 v55, 16, v13
	v_mul_f16_sdwa v81, v28, v1 dst_sel:DWORD dst_unused:UNUSED_PAD src0_sel:WORD_1 src1_sel:DWORD
	v_mul_f16_sdwa v67, v28, v51 dst_sel:DWORD dst_unused:UNUSED_PAD src0_sel:WORD_1 src1_sel:DWORD
	;; [unrolled: 1-line block ×3, first 2 shown]
	v_lshrrev_b32_e32 v57, 16, v11
	s_waitcnt lgkmcnt(2)
	v_lshrrev_b32_e32 v62, 16, v8
	s_waitcnt lgkmcnt(1)
	v_lshrrev_b32_e32 v64, 16, v6
	v_fmac_f16_e32 v67, v28, v1
	v_mul_f16_sdwa v1, v29, v12 dst_sel:DWORD dst_unused:UNUSED_PAD src0_sel:WORD_1 src1_sel:DWORD
	v_fma_f16 v28, v28, v51, -v81
	v_mul_f16_sdwa v51, v30, v54 dst_sel:DWORD dst_unused:UNUSED_PAD src0_sel:WORD_1 src1_sel:DWORD
	v_fmac_f16_e32 v83, v29, v12
	v_mul_f16_sdwa v12, v30, v10 dst_sel:DWORD dst_unused:UNUSED_PAD src0_sel:WORD_1 src1_sel:DWORD
	v_fma_f16 v1, v29, v52, -v1
	v_mul_f16_sdwa v29, v31, v55 dst_sel:DWORD dst_unused:UNUSED_PAD src0_sel:WORD_1 src1_sel:DWORD
	;; [unrolled: 4-line block ×3, first 2 shown]
	v_fmac_f16_e32 v29, v31, v13
	v_mul_f16_sdwa v13, v38, v11 dst_sel:DWORD dst_unused:UNUSED_PAD src0_sel:WORD_1 src1_sel:DWORD
	v_lshrrev_b32_e32 v65, 16, v9
	v_fma_f16 v10, v31, v55, -v10
	v_mul_f16_sdwa v31, v39, v62 dst_sel:DWORD dst_unused:UNUSED_PAD src0_sel:WORD_1 src1_sel:DWORD
	v_fmac_f16_e32 v30, v38, v11
	v_mul_f16_sdwa v11, v39, v8 dst_sel:DWORD dst_unused:UNUSED_PAD src0_sel:WORD_1 src1_sel:DWORD
	v_fma_f16 v13, v38, v57, -v13
	v_mul_f16_sdwa v38, v36, v64 dst_sel:DWORD dst_unused:UNUSED_PAD src0_sel:WORD_1 src1_sel:DWORD
	v_lshrrev_b32_e32 v80, 16, v7
	s_waitcnt lgkmcnt(0)
	v_lshrrev_b32_e32 v82, 16, v25
	v_fmac_f16_e32 v31, v39, v8
	v_mul_f16_sdwa v8, v36, v6 dst_sel:DWORD dst_unused:UNUSED_PAD src0_sel:WORD_1 src1_sel:DWORD
	v_fma_f16 v11, v39, v62, -v11
	v_mul_f16_sdwa v39, v37, v65 dst_sel:DWORD dst_unused:UNUSED_PAD src0_sel:WORD_1 src1_sel:DWORD
	v_fmac_f16_e32 v38, v36, v6
	v_mul_f16_sdwa v6, v37, v9 dst_sel:DWORD dst_unused:UNUSED_PAD src0_sel:WORD_1 src1_sel:DWORD
	v_fma_f16 v8, v36, v64, -v8
	v_mul_f16_sdwa v36, v34, v80 dst_sel:DWORD dst_unused:UNUSED_PAD src0_sel:WORD_1 src1_sel:DWORD
	;; [unrolled: 4-line block ×4, first 2 shown]
	v_fmac_f16_e32 v37, v35, v25
	v_mul_f16_sdwa v25, v32, v60 dst_sel:DWORD dst_unused:UNUSED_PAD src0_sel:WORD_1 src1_sel:DWORD
	v_lshrrev_b32_e32 v50, 16, v4
	v_fma_f16 v7, v35, v82, -v7
	v_mul_f16_sdwa v35, v33, v59 dst_sel:DWORD dst_unused:UNUSED_PAD src0_sel:WORD_1 src1_sel:DWORD
	v_fmac_f16_e32 v34, v32, v60
	v_mul_f16_sdwa v52, v33, v58 dst_sel:DWORD dst_unused:UNUSED_PAD src0_sel:WORD_1 src1_sel:DWORD
	v_fma_f16 v25, v32, v61, -v25
	v_add_f16_e32 v32, v67, v83
	v_fmac_f16_e32 v35, v33, v58
	v_add_f16_e32 v54, v4, v67
	v_fma_f16 v33, v33, v59, -v52
	v_add_f16_e32 v52, v28, v1
	v_fma_f16 v4, -0.5, v32, v4
	v_sub_f16_e32 v32, v28, v1
	v_add_f16_e32 v28, v50, v28
	v_lshrrev_b32_e32 v53, 16, v5
	v_fmac_f16_e32 v50, -0.5, v52
	v_sub_f16_e32 v52, v67, v83
	v_fmamk_f16 v55, v32, 0xbaee, v4
	v_add_f16_e32 v1, v28, v1
	v_add_f16_e32 v28, v51, v29
	v_fmac_f16_e32 v4, 0x3aee, v32
	v_fmamk_f16 v32, v52, 0x3aee, v50
	v_add_f16_e32 v57, v5, v51
	v_fmac_f16_e32 v50, 0xbaee, v52
	v_add_f16_e32 v52, v12, v10
	v_fmac_f16_e32 v5, -0.5, v28
	v_sub_f16_e32 v28, v12, v10
	v_add_f16_e32 v12, v53, v12
	v_add_f16_e32 v57, v57, v29
	v_fmac_f16_e32 v53, -0.5, v52
	v_sub_f16_e32 v29, v51, v29
	v_lshrrev_b32_e32 v56, 16, v2
	v_add_f16_e32 v10, v12, v10
	v_add_f16_e32 v12, v30, v31
	v_fmamk_f16 v51, v28, 0xbaee, v5
	v_fmac_f16_e32 v5, 0x3aee, v28
	v_fmamk_f16 v52, v29, 0x3aee, v53
	v_add_f16_e32 v28, v2, v30
	v_fmac_f16_e32 v53, 0xbaee, v29
	v_add_f16_e32 v29, v13, v11
	v_fma_f16 v2, -0.5, v12, v2
	v_sub_f16_e32 v12, v13, v11
	v_lshrrev_b32_e32 v63, 16, v3
	v_add_f16_e32 v58, v28, v31
	v_add_f16_e32 v13, v56, v13
	v_fmac_f16_e32 v56, -0.5, v29
	v_sub_f16_e32 v28, v30, v31
	v_fmamk_f16 v31, v12, 0xbaee, v2
	v_fmac_f16_e32 v2, 0x3aee, v12
	v_add_f16_e32 v12, v38, v39
	v_add_f16_e32 v11, v13, v11
	v_fmamk_f16 v13, v28, 0x3aee, v56
	v_add_f16_e32 v29, v3, v38
	v_fmac_f16_e32 v56, 0xbaee, v28
	v_add_f16_e32 v28, v8, v6
	v_fmac_f16_e32 v3, -0.5, v12
	v_sub_f16_e32 v12, v8, v6
	v_add_f16_e32 v8, v63, v8
	v_lshrrev_b32_e32 v66, 16, v0
	v_fmac_f16_e32 v63, -0.5, v28
	v_sub_f16_e32 v28, v38, v39
	v_add_f16_e32 v59, v29, v39
	v_add_f16_e32 v6, v8, v6
	;; [unrolled: 1-line block ×3, first 2 shown]
	v_fmamk_f16 v38, v12, 0xbaee, v3
	v_fmac_f16_e32 v3, 0x3aee, v12
	v_fmamk_f16 v12, v28, 0x3aee, v63
	v_add_f16_e32 v29, v0, v36
	v_fmac_f16_e32 v63, 0xbaee, v28
	v_add_f16_e32 v28, v9, v7
	v_fmac_f16_e32 v0, -0.5, v8
	v_sub_f16_e32 v8, v9, v7
	v_add_f16_e32 v9, v66, v9
	v_add_f16_e32 v54, v54, v83
	v_fmac_f16_e32 v66, -0.5, v28
	v_sub_f16_e32 v28, v36, v37
	v_fmamk_f16 v36, v8, 0xbaee, v0
	v_fmac_f16_e32 v0, 0x3aee, v8
	v_add_f16_e32 v8, v34, v35
	v_add_f16_e32 v39, v29, v37
	;; [unrolled: 1-line block ×3, first 2 shown]
	v_fmamk_f16 v9, v28, 0x3aee, v66
	v_fmac_f16_e32 v66, 0xbaee, v28
	v_add_f16_e32 v28, v25, v33
	v_add_f16_e32 v29, v34, v14
	v_fmac_f16_e32 v14, -0.5, v8
	v_sub_f16_e32 v8, v25, v33
	v_add_f16_e32 v30, v25, v24
	v_fmac_f16_e32 v24, -0.5, v28
	v_sub_f16_e32 v34, v34, v35
	v_add_f16_e32 v25, v29, v35
	v_fmamk_f16 v29, v8, 0xbaee, v14
	v_fmac_f16_e32 v14, 0x3aee, v8
	v_pack_b32_f16 v1, v54, v1
	v_pack_b32_f16 v8, v55, v32
	;; [unrolled: 1-line block ×8, first 2 shown]
	v_add_nc_u32_e32 v31, 0x700, v68
	v_add_f16_e32 v28, v33, v30
	v_fmamk_f16 v30, v34, 0x3aee, v24
	v_fmac_f16_e32 v24, 0xbaee, v34
	s_barrier
	buffer_gl0_inv
	ds_write2_b32 v68, v1, v8 offset1:160
	ds_write_b32 v68, v4 offset:1280
	ds_write2_b32 v87, v10, v32 offset1:160
	ds_write_b32 v87, v5 offset:1280
	ds_write2_b32 v31, v11, v13 offset0:52 offset1:212
	v_pack_b32_f16 v1, v2, v56
	v_pack_b32_f16 v2, v59, v6
	v_pack_b32_f16 v4, v38, v12
	v_pack_b32_f16 v3, v3, v63
	v_pack_b32_f16 v5, v39, v7
	v_pack_b32_f16 v6, v36, v9
	v_add_nc_u32_e32 v7, 0xe00, v85
	v_pack_b32_f16 v0, v0, v66
	ds_write_b32 v68, v1 offset:3280
	ds_write2_b32 v86, v2, v4 offset1:160
	ds_write_b32 v86, v3 offset:1280
	ds_write2_b32 v7, v5, v6 offset0:64 offset1:224
	ds_write_b32 v85, v0 offset:5120
	s_and_saveexec_b32 s1, s0
	s_cbranch_execz .LBB0_25
; %bb.24:
	v_mov_b32_e32 v0, 2
	v_perm_b32 v1, v28, v25, 0x5040100
	v_perm_b32 v2, v30, v29, 0x5040100
	;; [unrolled: 1-line block ×3, first 2 shown]
	v_lshlrev_b32_sdwa v0, v0, v23 dst_sel:DWORD dst_unused:UNUSED_PAD src0_sel:DWORD src1_sel:WORD_0
	v_add_nc_u32_e32 v3, 0xe00, v0
	ds_write2_b32 v3, v1, v2 offset0:64 offset1:224
	ds_write_b32 v0, v4 offset:5120
.LBB0_25:
	s_or_b32 exec_lo, exec_lo, s1
	v_add_nc_u32_e32 v4, 0xe00, v68
	v_add_nc_u32_e32 v0, 0x400, v68
	v_add_nc_u32_e32 v33, 0x800, v68
	v_add_nc_u32_e32 v23, 0x200, v68
	v_add_nc_u32_e32 v31, 0x1000, v68
	v_add_nc_u32_e32 v32, 0xa00, v68
	s_waitcnt lgkmcnt(0)
	s_barrier
	buffer_gl0_inv
	ds_read2_b32 v[2:3], v68 offset1:90
	ds_read2_b32 v[0:1], v0 offset0:104 offset1:224
	ds_read2_b32 v[12:13], v4 offset0:64 offset1:154
	;; [unrolled: 1-line block ×6, first 2 shown]
	ds_read_b32 v34, v68 offset:5280
	s_and_saveexec_b32 s1, s0
	s_cbranch_execz .LBB0_27
; %bb.26:
	ds_read_b32 v25, v68 offset:1800
	ds_read_b32 v29, v68 offset:3720
	;; [unrolled: 1-line block ×3, first 2 shown]
	s_waitcnt lgkmcnt(2)
	v_lshrrev_b32_e32 v28, 16, v25
	s_waitcnt lgkmcnt(1)
	v_lshrrev_b32_e32 v30, 16, v29
	;; [unrolled: 2-line block ×3, first 2 shown]
.LBB0_27:
	s_or_b32 exec_lo, exec_lo, s1
	s_waitcnt lgkmcnt(6)
	v_lshrrev_b32_e32 v36, 16, v1
	s_waitcnt lgkmcnt(5)
	v_lshrrev_b32_e32 v37, 16, v12
	;; [unrolled: 2-line block ×3, first 2 shown]
	v_lshrrev_b32_e32 v50, 16, v13
	v_lshrrev_b32_e32 v52, 16, v11
	v_mul_f16_sdwa v58, v42, v36 dst_sel:DWORD dst_unused:UNUSED_PAD src0_sel:WORD_1 src1_sel:DWORD
	v_mul_f16_sdwa v62, v43, v37 dst_sel:DWORD dst_unused:UNUSED_PAD src0_sel:WORD_1 src1_sel:DWORD
	;; [unrolled: 1-line block ×3, first 2 shown]
	s_waitcnt lgkmcnt(2)
	v_lshrrev_b32_e32 v53, 16, v8
	s_waitcnt lgkmcnt(1)
	v_lshrrev_b32_e32 v55, 16, v6
	v_fmac_f16_e32 v58, v42, v1
	v_mul_f16_sdwa v1, v43, v12 dst_sel:DWORD dst_unused:UNUSED_PAD src0_sel:WORD_1 src1_sel:DWORD
	v_fmac_f16_e32 v62, v43, v12
	v_mul_f16_sdwa v12, v46, v10 dst_sel:DWORD dst_unused:UNUSED_PAD src0_sel:WORD_1 src1_sel:DWORD
	v_fma_f16 v36, v42, v36, -v60
	v_mul_f16_sdwa v42, v46, v39 dst_sel:DWORD dst_unused:UNUSED_PAD src0_sel:WORD_1 src1_sel:DWORD
	v_fma_f16 v1, v43, v37, -v1
	;; [unrolled: 2-line block ×3, first 2 shown]
	v_mul_f16_sdwa v39, v40, v52 dst_sel:DWORD dst_unused:UNUSED_PAD src0_sel:WORD_1 src1_sel:DWORD
	v_lshrrev_b32_e32 v56, 16, v9
	v_fmac_f16_e32 v42, v46, v10
	v_mul_f16_sdwa v10, v47, v13 dst_sel:DWORD dst_unused:UNUSED_PAD src0_sel:WORD_1 src1_sel:DWORD
	v_fmac_f16_e32 v37, v47, v13
	v_mul_f16_sdwa v13, v40, v11 dst_sel:DWORD dst_unused:UNUSED_PAD src0_sel:WORD_1 src1_sel:DWORD
	v_mul_f16_sdwa v43, v41, v53 dst_sel:DWORD dst_unused:UNUSED_PAD src0_sel:WORD_1 src1_sel:DWORD
	v_fmac_f16_e32 v39, v40, v11
	v_mul_f16_sdwa v11, v41, v8 dst_sel:DWORD dst_unused:UNUSED_PAD src0_sel:WORD_1 src1_sel:DWORD
	v_lshrrev_b32_e32 v59, 16, v7
	v_fma_f16 v13, v40, v52, -v13
	v_mul_f16_sdwa v40, v48, v55 dst_sel:DWORD dst_unused:UNUSED_PAD src0_sel:WORD_1 src1_sel:DWORD
	v_fmac_f16_e32 v43, v41, v8
	v_fma_f16 v11, v41, v53, -v11
	v_mul_f16_sdwa v41, v49, v56 dst_sel:DWORD dst_unused:UNUSED_PAD src0_sel:WORD_1 src1_sel:DWORD
	s_waitcnt lgkmcnt(0)
	v_lshrrev_b32_e32 v61, 16, v34
	v_mul_f16_sdwa v8, v48, v6 dst_sel:DWORD dst_unused:UNUSED_PAD src0_sel:WORD_1 src1_sel:DWORD
	v_fmac_f16_e32 v40, v48, v6
	v_mul_f16_sdwa v6, v49, v9 dst_sel:DWORD dst_unused:UNUSED_PAD src0_sel:WORD_1 src1_sel:DWORD
	v_mul_f16_sdwa v46, v44, v59 dst_sel:DWORD dst_unused:UNUSED_PAD src0_sel:WORD_1 src1_sel:DWORD
	v_fmac_f16_e32 v41, v49, v9
	v_mul_f16_sdwa v9, v44, v7 dst_sel:DWORD dst_unused:UNUSED_PAD src0_sel:WORD_1 src1_sel:DWORD
	v_lshrrev_b32_e32 v35, 16, v2
	v_fma_f16 v10, v47, v50, -v10
	v_mul_f16_sdwa v47, v45, v61 dst_sel:DWORD dst_unused:UNUSED_PAD src0_sel:WORD_1 src1_sel:DWORD
	v_fmac_f16_e32 v46, v44, v7
	v_mul_f16_sdwa v7, v45, v34 dst_sel:DWORD dst_unused:UNUSED_PAD src0_sel:WORD_1 src1_sel:DWORD
	v_fma_f16 v9, v44, v59, -v9
	v_add_f16_e32 v44, v58, v62
	v_fmac_f16_e32 v47, v45, v34
	v_add_f16_e32 v34, v2, v58
	v_fma_f16 v7, v45, v61, -v7
	v_add_f16_e32 v45, v36, v1
	v_fma_f16 v2, -0.5, v44, v2
	v_sub_f16_e32 v44, v36, v1
	v_add_f16_e32 v36, v35, v36
	v_lshrrev_b32_e32 v38, 16, v3
	v_fmac_f16_e32 v35, -0.5, v45
	v_sub_f16_e32 v45, v58, v62
	v_fma_f16 v8, v48, v55, -v8
	v_add_f16_e32 v1, v36, v1
	v_add_f16_e32 v36, v42, v37
	v_fma_f16 v6, v49, v56, -v6
	v_fmamk_f16 v48, v44, 0xbaee, v2
	v_fmac_f16_e32 v2, 0x3aee, v44
	v_fmamk_f16 v44, v45, 0x3aee, v35
	v_add_f16_e32 v49, v3, v42
	v_fmac_f16_e32 v35, 0xbaee, v45
	v_add_f16_e32 v45, v12, v10
	v_fmac_f16_e32 v3, -0.5, v36
	v_sub_f16_e32 v36, v12, v10
	v_add_f16_e32 v12, v38, v12
	v_add_f16_e32 v49, v49, v37
	v_fmac_f16_e32 v38, -0.5, v45
	v_sub_f16_e32 v37, v42, v37
	v_lshrrev_b32_e32 v51, 16, v4
	v_add_f16_e32 v10, v12, v10
	v_add_f16_e32 v12, v39, v43
	v_fmamk_f16 v42, v36, 0xbaee, v3
	v_fmac_f16_e32 v3, 0x3aee, v36
	v_fmamk_f16 v36, v37, 0x3aee, v38
	v_add_f16_e32 v45, v4, v39
	v_fmac_f16_e32 v38, 0xbaee, v37
	v_add_f16_e32 v37, v13, v11
	v_fma_f16 v4, -0.5, v12, v4
	v_sub_f16_e32 v12, v13, v11
	v_lshrrev_b32_e32 v54, 16, v5
	v_add_f16_e32 v13, v51, v13
	v_fmac_f16_e32 v51, -0.5, v37
	v_sub_f16_e32 v37, v39, v43
	v_fmamk_f16 v39, v12, 0xbaee, v4
	v_fmac_f16_e32 v4, 0x3aee, v12
	v_add_f16_e32 v12, v40, v41
	v_add_f16_e32 v45, v45, v43
	;; [unrolled: 1-line block ×3, first 2 shown]
	v_fmamk_f16 v13, v37, 0x3aee, v51
	v_add_f16_e32 v43, v5, v40
	v_fmac_f16_e32 v51, 0xbaee, v37
	v_add_f16_e32 v37, v8, v6
	v_fmac_f16_e32 v5, -0.5, v12
	v_sub_f16_e32 v12, v8, v6
	v_add_f16_e32 v8, v54, v8
	v_lshrrev_b32_e32 v57, 16, v0
	v_fmac_f16_e32 v54, -0.5, v37
	v_sub_f16_e32 v37, v40, v41
	v_add_f16_e32 v43, v43, v41
	v_add_f16_e32 v6, v8, v6
	;; [unrolled: 1-line block ×3, first 2 shown]
	v_fmamk_f16 v40, v12, 0xbaee, v5
	v_fmac_f16_e32 v5, 0x3aee, v12
	v_fmamk_f16 v12, v37, 0x3aee, v54
	v_add_f16_e32 v41, v0, v46
	v_fmac_f16_e32 v54, 0xbaee, v37
	v_add_f16_e32 v37, v9, v7
	v_fmac_f16_e32 v0, -0.5, v8
	v_sub_f16_e32 v8, v9, v7
	v_add_f16_e32 v34, v34, v62
	v_add_f16_e32 v9, v57, v9
	v_fmac_f16_e32 v57, -0.5, v37
	v_sub_f16_e32 v37, v46, v47
	v_fmamk_f16 v46, v8, 0xbaee, v0
	v_fmac_f16_e32 v0, 0x3aee, v8
	v_pack_b32_f16 v8, v48, v44
	v_pack_b32_f16 v2, v2, v35
	;; [unrolled: 1-line block ×3, first 2 shown]
	v_add_f16_e32 v41, v41, v47
	v_add_f16_e32 v7, v9, v7
	ds_write_b32 v68, v8 offset:1920
	v_pack_b32_f16 v8, v49, v10
	v_pack_b32_f16 v3, v3, v38
	v_fmamk_f16 v9, v37, 0x3aee, v57
	v_fmac_f16_e32 v57, 0xbaee, v37
	v_pack_b32_f16 v10, v42, v36
	v_pack_b32_f16 v13, v39, v13
	ds_write_b32 v68, v2 offset:3840
	ds_write2_b32 v68, v1, v8 offset1:90
	ds_write_b32 v68, v3 offset:4200
	v_pack_b32_f16 v1, v45, v11
	v_pack_b32_f16 v3, v43, v6
	;; [unrolled: 1-line block ×8, first 2 shown]
	ds_write2_b32 v33, v10, v13 offset0:58 offset1:148
	ds_write2_b32 v23, v1, v3 offset0:52 offset1:142
	;; [unrolled: 1-line block ×3, first 2 shown]
	ds_write_b32 v68, v6 offset:1440
	ds_write2_b32 v32, v4, v7 offset0:110 offset1:200
	ds_write_b32 v68, v0 offset:5280
	s_and_saveexec_b32 s1, s0
	s_cbranch_execz .LBB0_29
; %bb.28:
	v_mul_f16_sdwa v0, v27, v14 dst_sel:DWORD dst_unused:UNUSED_PAD src0_sel:WORD_1 src1_sel:DWORD
	v_mul_f16_sdwa v1, v26, v29 dst_sel:DWORD dst_unused:UNUSED_PAD src0_sel:WORD_1 src1_sel:DWORD
	;; [unrolled: 1-line block ×4, first 2 shown]
	v_fma_f16 v0, v27, v24, -v0
	v_fma_f16 v1, v26, v30, -v1
	v_fmac_f16_e32 v2, v26, v29
	v_fmac_f16_e32 v3, v27, v14
	v_add_f16_e32 v4, v1, v0
	v_add_f16_e32 v5, v1, v28
	;; [unrolled: 1-line block ×4, first 2 shown]
	v_sub_f16_e32 v2, v2, v3
	v_fmac_f16_e32 v28, -0.5, v4
	v_sub_f16_e32 v1, v1, v0
	v_fmac_f16_e32 v25, -0.5, v6
	v_add_f16_e32 v0, v0, v5
	v_add_f16_e32 v3, v7, v3
	v_fmamk_f16 v4, v2, 0xbaee, v28
	v_fmac_f16_e32 v28, 0x3aee, v2
	v_fmamk_f16 v2, v1, 0x3aee, v25
	v_fmac_f16_e32 v25, 0xbaee, v1
	v_pack_b32_f16 v0, v3, v0
	v_pack_b32_f16 v2, v2, v4
	;; [unrolled: 1-line block ×3, first 2 shown]
	ds_write_b32 v68, v0 offset:1800
	ds_write_b32 v68, v1 offset:3720
	;; [unrolled: 1-line block ×3, first 2 shown]
.LBB0_29:
	s_or_b32 exec_lo, exec_lo, s1
	s_waitcnt lgkmcnt(0)
	s_barrier
	buffer_gl0_inv
	ds_read2_b32 v[0:1], v68 offset1:144
	v_add_nc_u32_e32 v2, 0x400, v68
	s_mov_b32 s4, 0x16c16c17
	s_mov_b32 s5, 0x3f46c16c
	ds_read2_b32 v[4:5], v2 offset0:32 offset1:176
	s_waitcnt lgkmcnt(1)
	v_lshrrev_b32_e32 v2, 16, v0
	v_mul_f16_sdwa v3, v78, v0 dst_sel:DWORD dst_unused:UNUSED_PAD src0_sel:WORD_1 src1_sel:DWORD
	v_lshrrev_b32_e32 v6, 16, v1
	v_mul_f16_sdwa v7, v77, v1 dst_sel:DWORD dst_unused:UNUSED_PAD src0_sel:WORD_1 src1_sel:DWORD
	v_mul_f16_sdwa v8, v78, v2 dst_sel:DWORD dst_unused:UNUSED_PAD src0_sel:WORD_1 src1_sel:DWORD
	v_fma_f16 v3, v78, v2, -v3
	v_mul_f16_sdwa v12, v77, v6 dst_sel:DWORD dst_unused:UNUSED_PAD src0_sel:WORD_1 src1_sel:DWORD
	v_fma_f16 v2, v77, v6, -v7
	s_waitcnt lgkmcnt(0)
	v_lshrrev_b32_e32 v14, 16, v4
	v_fmac_f16_e32 v8, v78, v0
	v_cvt_f32_f16_e32 v3, v3
	v_fmac_f16_e32 v12, v77, v1
	v_cvt_f32_f16_e32 v0, v2
	v_mul_f16_sdwa v23, v79, v14 dst_sel:DWORD dst_unused:UNUSED_PAD src0_sel:WORD_1 src1_sel:DWORD
	v_cvt_f32_f16_e32 v10, v8
	v_cvt_f64_f32_e32 v[2:3], v3
	v_cvt_f32_f16_e32 v12, v12
	v_cvt_f64_f32_e32 v[0:1], v0
	v_mad_u64_u32 v[6:7], null, s10, v21, 0
	v_cvt_f64_f32_e32 v[10:11], v10
	v_mad_u64_u32 v[8:9], null, s8, v22, 0
	v_cvt_f64_f32_e32 v[12:13], v12
	v_fmac_f16_e32 v23, v79, v4
	v_cvt_f32_f16_e32 v25, v23
	v_mad_u64_u32 v[23:24], null, s11, v21, v[7:8]
	v_cvt_f64_f32_e32 v[24:25], v25
	v_mul_f64 v[26:27], v[2:3], s[4:5]
	v_mov_b32_e32 v7, v23
	v_mul_f64 v[0:1], v[0:1], s[4:5]
	v_mad_u64_u32 v[2:3], null, s9, v22, v[9:10]
	v_mul_f64 v[10:11], v[10:11], s[4:5]
	v_mov_b32_e32 v9, v2
	v_mul_f16_sdwa v2, v79, v4 dst_sel:DWORD dst_unused:UNUSED_PAD src0_sel:WORD_1 src1_sel:DWORD
	v_lshlrev_b64 v[3:4], 2, v[6:7]
	v_lshlrev_b64 v[6:7], 2, v[8:9]
	v_mul_f64 v[8:9], v[12:13], s[4:5]
	v_fma_f16 v2, v79, v14, -v2
	v_add_co_u32 v3, s0, s2, v3
	v_and_or_b32 v14, 0x1ff, v27, v26
	v_add_co_ci_u32_e64 v4, s0, s3, v4, s0
	v_and_or_b32 v0, 0x1ff, v1, v0
	v_lshrrev_b32_e32 v21, 8, v27
	v_cmp_ne_u32_e64 s0, 0, v14
	v_and_or_b32 v10, 0x1ff, v11, v10
	v_bfe_u32 v22, v27, 20, 11
	v_lshrrev_b32_e32 v23, 16, v27
	v_lshrrev_b32_e32 v26, 8, v11
	v_cndmask_b32_e64 v14, 0, 1, s0
	v_cmp_ne_u32_e64 s0, 0, v0
	v_bfe_u32 v27, v11, 20, 11
	v_mul_f64 v[12:13], v[24:25], s[4:5]
	v_bfe_u32 v25, v1, 20, 11
	v_lshrrev_b32_e32 v24, 8, v1
	v_cndmask_b32_e64 v0, 0, 1, s0
	v_cmp_ne_u32_e64 s0, 0, v10
	v_and_or_b32 v8, 0x1ff, v9, v8
	v_sub_nc_u32_e32 v32, 0x3f1, v27
	v_sub_nc_u32_e32 v28, 0x3f1, v22
	v_lshrrev_b32_e32 v29, 8, v9
	v_cndmask_b32_e64 v10, 0, 1, s0
	v_cmp_ne_u32_e64 s0, 0, v8
	v_sub_nc_u32_e32 v31, 0x3f1, v25
	v_and_or_b32 v14, 0xffe, v21, v14
	v_add_nc_u32_e32 v22, 0xfffffc10, v22
	v_and_or_b32 v10, 0xffe, v26, v10
	v_cndmask_b32_e64 v8, 0, 1, s0
	v_med3_i32 v26, v32, 0, 13
	v_med3_i32 v21, v28, 0, 13
	v_and_or_b32 v0, 0xffe, v24, v0
	v_or_b32_e32 v32, 0x1000, v10
	v_med3_i32 v24, v31, 0, 13
	v_or_b32_e32 v31, 0x1000, v14
	v_cmp_ne_u32_e64 s0, 0, v14
	v_and_or_b32 v8, 0xffe, v29, v8
	v_lshrrev_b32_e32 v29, v26, v32
	v_add_nc_u32_e32 v27, 0xfffffc10, v27
	v_lshl_or_b32 v33, v22, 12, v14
	v_cndmask_b32_e64 v14, 0, 1, s0
	v_lshrrev_b32_e32 v34, v21, v31
	v_lshlrev_b32_e32 v26, v26, v29
	v_cmp_ne_u32_e64 s0, 0, v10
	v_bfe_u32 v30, v9, 20, 11
	v_lshl_or_b32 v36, v27, 12, v10
	v_lshlrev_b32_e32 v21, v21, v34
	v_or_b32_e32 v37, 0x1000, v8
	v_cndmask_b32_e64 v10, 0, 1, s0
	v_cmp_ne_u32_e64 s0, v26, v32
	v_sub_nc_u32_e32 v28, 0x3f1, v30
	v_add_nc_u32_e32 v30, 0xfffffc10, v30
	v_or_b32_e32 v35, 0x1000, v0
	v_lshl_or_b32 v10, v10, 9, 0x7c00
	v_cndmask_b32_e64 v26, 0, 1, s0
	v_cmp_ne_u32_e64 s0, v21, v31
	v_med3_i32 v28, v28, 0, 13
	v_lshl_or_b32 v14, v14, 9, 0x7c00
	v_lshrrev_b32_e32 v11, 16, v11
	v_or_b32_e32 v26, v29, v26
	v_cndmask_b32_e64 v21, 0, 1, s0
	v_cmp_gt_i32_e64 s0, 1, v27
	v_lshrrev_b32_e32 v31, v28, v37
	v_lshl_or_b32 v29, v30, 12, v8
	v_add_nc_u32_e32 v25, 0xfffffc10, v25
	v_or_b32_e32 v21, v34, v21
	v_cndmask_b32_e64 v26, v36, v26, s0
	v_cmp_gt_i32_e64 s0, 1, v22
	v_lshlrev_b32_e32 v28, v28, v31
	v_cvt_f32_f16_e32 v2, v2
	v_and_or_b32 v12, 0x1ff, v13, v12
	v_and_b32_e32 v32, 7, v26
	v_cndmask_b32_e64 v21, v33, v21, s0
	v_cmp_ne_u32_e64 s0, v28, v37
	v_lshrrev_b32_e32 v26, 2, v26
	v_lshrrev_b32_e32 v33, v24, v35
	v_cmp_eq_u32_e64 s1, 3, v32
	v_and_b32_e32 v34, 7, v21
	v_cndmask_b32_e64 v28, 0, 1, s0
	v_cmp_lt_i32_e64 s0, 5, v32
	v_lshrrev_b32_e32 v21, 2, v21
	v_lshlrev_b32_e32 v24, v24, v33
	v_cmp_lt_i32_e64 s2, 5, v34
	v_cmp_eq_u32_e64 s3, 3, v34
	s_or_b32 s0, s1, s0
	v_or_b32_e32 v28, v31, v28
	v_add_co_ci_u32_e64 v26, s0, 0, v26, s0
	s_or_b32 s0, s3, s2
	v_cmp_ne_u32_e64 s2, v24, v35
	v_add_co_ci_u32_e64 v21, s0, 0, v21, s0
	v_cmp_gt_i32_e64 s0, 31, v27
	v_bfe_u32 v24, v13, 20, 11
	v_lshrrev_b32_e32 v1, 16, v1
	v_cndmask_b32_e64 v26, 0x7c00, v26, s0
	v_cmp_gt_i32_e64 s0, 1, v30
	v_cndmask_b32_e64 v28, v29, v28, s0
	v_cmp_gt_i32_e64 s0, 31, v22
	v_cndmask_b32_e64 v21, 0x7c00, v21, s0
	v_cmp_eq_u32_e64 s0, 0x40f, v27
	v_cndmask_b32_e64 v10, v26, v10, s0
	v_and_b32_e32 v26, 7, v28
	v_cmp_eq_u32_e64 s0, 0x40f, v22
	v_and_or_b32 v10, 0x8000, v11, v10
	v_cmp_eq_u32_e64 s1, 3, v26
	v_cndmask_b32_e64 v14, v21, v14, s0
	v_cmp_lt_i32_e64 s0, 5, v26
	v_lshrrev_b32_e32 v11, 2, v28
	v_and_b32_e32 v10, 0xffff, v10
	v_cndmask_b32_e64 v21, 0, 1, s2
	v_and_or_b32 v14, 0x8000, v23, v14
	s_or_b32 s0, s1, s0
	v_cmp_eq_u32_e64 s2, 0x40f, v30
	v_add_co_ci_u32_e64 v11, s0, 0, v11, s0
	v_cmp_ne_u32_e64 s0, 0, v8
	v_lshl_or_b32 v14, v14, 16, v10
	v_or_b32_e32 v10, v33, v21
	v_lshl_or_b32 v21, v25, 12, v0
	v_lshrrev_b32_e32 v23, 8, v13
	v_cndmask_b32_e64 v8, 0, 1, s0
	v_cmp_gt_i32_e64 s0, 1, v25
	v_lshrrev_b32_e32 v13, 16, v13
	v_lshl_or_b32 v8, v8, 9, 0x7c00
	v_cndmask_b32_e64 v21, v21, v10, s0
	v_cmp_gt_i32_e64 s0, 31, v30
	v_cndmask_b32_e64 v22, 0x7c00, v11, s0
	v_cvt_f64_f32_e32 v[10:11], v2
	v_and_b32_e32 v2, 7, v21
	v_add_co_u32 v6, s0, v3, v6
	v_add_co_ci_u32_e64 v7, s0, v4, v7, s0
	v_cmp_lt_i32_e64 s0, 5, v2
	v_cmp_eq_u32_e64 s1, 3, v2
	v_cndmask_b32_e64 v2, v22, v8, s2
	v_lshrrev_b32_e32 v8, 2, v21
	v_lshrrev_b32_e32 v21, 16, v9
	global_store_dword v[6:7], v14, off
	s_or_b32 s0, s1, s0
	s_mul_i32 s1, s9, 0x90
	v_add_co_ci_u32_e64 v22, s0, 0, v8, s0
	v_cmp_ne_u32_e64 s0, 0, v12
	v_and_or_b32 v2, 0x8000, v21, v2
	v_add_nc_u32_e32 v21, 0xfffffc10, v24
	s_mul_hi_u32 s2, s8, 0x90
	v_cndmask_b32_e64 v12, 0, 1, s0
	v_cmp_ne_u32_e64 s0, 0, v0
	v_mul_f64 v[8:9], v[10:11], s[4:5]
	v_sub_nc_u32_e32 v11, 0x3f1, v24
	v_and_b32_e32 v2, 0xffff, v2
	v_and_or_b32 v10, 0xffe, v23, v12
	v_cndmask_b32_e64 v0, 0, 1, s0
	v_cmp_gt_i32_e64 s0, 31, v25
	v_lshrrev_b32_e32 v12, 16, v5
	v_med3_i32 v11, v11, 0, 13
	v_or_b32_e32 v23, 0x1000, v10
	v_lshl_or_b32 v0, v0, 9, 0x7c00
	v_cndmask_b32_e64 v22, 0x7c00, v22, s0
	v_cmp_eq_u32_e64 s0, 0x40f, v25
	v_mul_f16_sdwa v26, v76, v12 dst_sel:DWORD dst_unused:UNUSED_PAD src0_sel:WORD_1 src1_sel:DWORD
	s_add_i32 s1, s2, s1
	v_cndmask_b32_e64 v0, v22, v0, s0
	v_lshrrev_b32_e32 v22, v11, v23
	v_fmac_f16_e32 v26, v76, v5
	v_and_or_b32 v14, 0x8000, v1, v0
	v_lshlrev_b32_e32 v11, v11, v22
	v_cvt_f32_f16_e32 v0, v26
	v_and_or_b32 v8, 0x1ff, v9, v8
	v_bfe_u32 v24, v9, 20, 11
	v_lshl_or_b32 v2, v14, 16, v2
	v_cmp_ne_u32_e64 s0, v11, v23
	v_cvt_f64_f32_e32 v[0:1], v0
	v_lshrrev_b32_e32 v23, 8, v9
	v_mul_f16_sdwa v26, v76, v5 dst_sel:DWORD dst_unused:UNUSED_PAD src0_sel:WORD_1 src1_sel:DWORD
	v_lshrrev_b32_e32 v9, 16, v9
	v_cndmask_b32_e64 v11, 0, 1, s0
	v_cmp_ne_u32_e64 s0, 0, v8
	v_or_b32_e32 v11, v22, v11
	v_cndmask_b32_e64 v8, 0, 1, s0
	v_lshl_or_b32 v22, v21, 12, v10
	v_cmp_gt_i32_e64 s0, 1, v21
	v_and_or_b32 v23, 0xffe, v23, v8
	v_sub_nc_u32_e32 v8, 0x3f1, v24
	v_cndmask_b32_e64 v11, v22, v11, s0
	s_mul_i32 s0, s8, 0x90
	v_or_b32_e32 v22, 0x1000, v23
	v_med3_i32 v8, v8, 0, 13
	v_mul_f64 v[0:1], v[0:1], s[4:5]
	s_lshl_b64 s[6:7], s[0:1], 2
	v_and_b32_e32 v14, 7, v11
	v_add_co_u32 v5, s0, v6, s6
	v_lshrrev_b32_e32 v25, v8, v22
	v_add_co_ci_u32_e64 v6, s0, s7, v7, s0
	v_cmp_lt_i32_e64 s0, 5, v14
	v_cmp_eq_u32_e64 s1, 3, v14
	v_lshlrev_b32_e32 v7, v8, v25
	v_lshrrev_b32_e32 v11, 2, v11
	v_fma_f16 v8, v76, v12, -v26
	v_add_nc_u32_e32 v14, 0xfffffc10, v24
	s_or_b32 s0, s1, s0
	v_cmp_ne_u32_e64 s2, v7, v22
	v_add_co_ci_u32_e64 v12, s0, 0, v11, s0
	v_cmp_ne_u32_e64 s0, 0, v10
	v_cvt_f32_f16_e32 v8, v8
	v_cndmask_b32_e64 v7, 0, 1, s2
	v_lshl_or_b32 v24, v14, 12, v23
	v_and_or_b32 v0, 0x1ff, v1, v0
	v_add_nc_u32_e32 v11, 0x800, v68
	v_bfe_u32 v26, v1, 20, 11
	v_or_b32_e32 v22, v25, v7
	v_cndmask_b32_e64 v25, 0, 1, s0
	v_cmp_gt_i32_e64 s0, 1, v14
	v_cvt_f64_f32_e32 v[7:8], v8
	ds_read2_b32 v[10:11], v11 offset0:64 offset1:208
	global_store_dword v[5:6], v2, off
	v_lshl_or_b32 v25, v25, 9, 0x7c00
	v_cndmask_b32_e64 v22, v24, v22, s0
	v_cmp_ne_u32_e64 s0, 0, v0
	v_lshrrev_b32_e32 v24, 8, v1
	v_add_co_u32 v5, s2, v5, s6
	v_and_b32_e32 v27, 7, v22
	v_cndmask_b32_e64 v0, 0, 1, s0
	v_cmp_gt_i32_e64 s0, 31, v21
	v_add_co_ci_u32_e64 v6, s2, s7, v6, s2
	v_cmp_eq_u32_e64 s1, 3, v27
	v_and_or_b32 v0, 0xffe, v24, v0
	v_cndmask_b32_e64 v12, 0x7c00, v12, s0
	v_cmp_eq_u32_e64 s0, 0x40f, v21
	v_sub_nc_u32_e32 v21, 0x3f1, v26
	v_or_b32_e32 v24, 0x1000, v0
	v_cndmask_b32_e64 v12, v12, v25, s0
	v_cmp_lt_i32_e64 s0, 5, v27
	v_mul_f64 v[7:8], v[7:8], s[4:5]
	v_med3_i32 v21, v21, 0, 13
	s_waitcnt lgkmcnt(0)
	v_lshrrev_b32_e32 v25, 16, v10
	v_and_or_b32 v27, 0x8000, v13, v12
	v_lshrrev_b32_e32 v12, 2, v22
	s_or_b32 s0, s1, s0
	v_lshrrev_b32_e32 v22, v21, v24
	v_mul_f16_sdwa v13, v75, v25 dst_sel:DWORD dst_unused:UNUSED_PAD src0_sel:WORD_1 src1_sel:DWORD
	v_add_co_ci_u32_e64 v12, s0, 0, v12, s0
	v_cmp_ne_u32_e64 s0, 0, v23
	v_lshlrev_b32_e32 v21, v21, v22
	v_fmac_f16_e32 v13, v75, v10
	v_cndmask_b32_e64 v23, 0, 1, s0
	v_cmp_gt_i32_e64 s0, 31, v14
	v_lshl_or_b32 v23, v23, 9, 0x7c00
	v_cndmask_b32_e64 v28, 0x7c00, v12, s0
	v_cmp_ne_u32_e64 s0, v21, v24
	v_and_or_b32 v7, 0x1ff, v8, v7
	v_cvt_f32_f16_e32 v12, v13
	v_add_nc_u32_e32 v24, 0xfffffc10, v26
	v_bfe_u32 v26, v8, 20, 11
	v_cndmask_b32_e64 v21, 0, 1, s0
	v_cmp_eq_u32_e64 s0, 0x40f, v14
	v_cvt_f64_f32_e32 v[12:13], v12
	v_or_b32_e32 v21, v22, v21
	v_cndmask_b32_e64 v14, v28, v23, s0
	v_cmp_ne_u32_e64 s0, 0, v7
	v_lshl_or_b32 v22, v24, 12, v0
	v_lshrrev_b32_e32 v23, 8, v8
	v_and_or_b32 v9, 0x8000, v9, v14
	v_cndmask_b32_e64 v7, 0, 1, s0
	v_cmp_gt_i32_e64 s0, 1, v24
	v_sub_nc_u32_e32 v14, 0x3f1, v26
	v_and_or_b32 v7, 0xffe, v23, v7
	v_cndmask_b32_e64 v21, v22, v21, s0
	v_med3_i32 v14, v14, 0, 13
	v_and_b32_e32 v22, 0xffff, v27
	v_or_b32_e32 v2, 0x1000, v7
	v_and_b32_e32 v23, 7, v21
	v_mul_f64 v[12:13], v[12:13], s[4:5]
	v_lshl_or_b32 v22, v9, 16, v22
	v_mul_f16_sdwa v9, v75, v10 dst_sel:DWORD dst_unused:UNUSED_PAD src0_sel:WORD_1 src1_sel:DWORD
	v_lshrrev_b32_e32 v10, 2, v21
	v_cmp_lt_i32_e64 s0, 5, v23
	v_cmp_eq_u32_e64 s1, 3, v23
	v_lshrrev_b32_e32 v23, v14, v2
	v_fma_f16 v9, v75, v25, -v9
	global_store_dword v[5:6], v22, off
	v_add_nc_u32_e32 v22, 0xc00, v68
	s_or_b32 s0, s1, s0
	v_lshlrev_b32_e32 v14, v14, v23
	v_add_co_ci_u32_e64 v21, s0, 0, v10, s0
	v_cvt_f32_f16_e32 v9, v9
	v_add_co_u32 v5, s2, v5, s6
	v_cmp_ne_u32_e64 s0, v14, v2
	v_add_nc_u32_e32 v14, 0xfffffc10, v26
	v_cvt_f64_f32_e32 v[9:10], v9
	v_lshrrev_b32_e32 v26, 16, v11
	v_add_co_ci_u32_e64 v6, s2, s7, v6, s2
	v_cndmask_b32_e64 v2, 0, 1, s0
	v_cmp_ne_u32_e64 s0, 0, v0
	v_and_or_b32 v12, 0x1ff, v13, v12
	v_or_b32_e32 v2, v23, v2
	v_cndmask_b32_e64 v0, 0, 1, s0
	v_cmp_gt_i32_e64 s0, 31, v24
	v_lshl_or_b32 v23, v14, 12, v7
	v_lshl_or_b32 v0, v0, 9, 0x7c00
	v_cndmask_b32_e64 v21, 0x7c00, v21, s0
	v_cmp_gt_i32_e64 s0, 1, v14
	v_cndmask_b32_e64 v2, v23, v2, s0
	v_cmp_ne_u32_e64 s0, 0, v12
	v_lshrrev_b32_e32 v23, 8, v13
	v_and_b32_e32 v25, 7, v2
	v_cndmask_b32_e64 v12, 0, 1, s0
	v_cmp_eq_u32_e64 s0, 0x40f, v24
	v_bfe_u32 v24, v13, 20, 11
	v_lshrrev_b32_e32 v2, 2, v2
	v_cmp_eq_u32_e64 s1, 3, v25
	v_and_or_b32 v12, 0xffe, v23, v12
	v_cndmask_b32_e64 v21, v21, v0, s0
	v_sub_nc_u32_e32 v27, 0x3f1, v24
	v_cmp_lt_i32_e64 s0, 5, v25
	v_lshrrev_b32_e32 v23, 16, v1
	v_mul_f64 v[0:1], v[9:10], s[4:5]
	v_or_b32_e32 v28, 0x1000, v12
	v_med3_i32 v10, v27, 0, 13
	v_mul_f16_sdwa v9, v74, v26 dst_sel:DWORD dst_unused:UNUSED_PAD src0_sel:WORD_1 src1_sel:DWORD
	s_or_b32 s0, s1, s0
	v_and_or_b32 v21, 0x8000, v23, v21
	v_add_co_ci_u32_e64 v2, s0, 0, v2, s0
	v_lshrrev_b32_e32 v23, v10, v28
	v_cmp_ne_u32_e64 s0, 0, v7
	v_fmac_f16_e32 v9, v74, v11
	v_add_nc_u32_e32 v24, 0xfffffc10, v24
	v_and_b32_e32 v21, 0xffff, v21
	v_lshlrev_b32_e32 v25, v10, v23
	v_cndmask_b32_e64 v7, 0, 1, s0
	v_cmp_gt_i32_e64 s0, 31, v14
	v_cvt_f32_f16_e32 v9, v9
	v_mul_f16_sdwa v11, v74, v11 dst_sel:DWORD dst_unused:UNUSED_PAD src0_sel:WORD_1 src1_sel:DWORD
	v_lshl_or_b32 v7, v7, 9, 0x7c00
	v_cndmask_b32_e64 v2, 0x7c00, v2, s0
	v_cmp_ne_u32_e64 s0, v25, v28
	v_cvt_f64_f32_e32 v[9:10], v9
	v_and_or_b32 v0, 0x1ff, v1, v0
	v_fma_f16 v11, v74, v26, -v11
	v_cndmask_b32_e64 v25, 0, 1, s0
	v_cmp_eq_u32_e64 s0, 0x40f, v14
	v_lshl_or_b32 v14, v24, 12, v12
	v_cvt_f32_f16_e32 v11, v11
	v_cndmask_b32_e64 v2, v2, v7, s0
	v_cmp_ne_u32_e64 s0, 0, v0
	v_lshrrev_b32_e32 v7, 16, v8
	v_or_b32_e32 v8, v23, v25
	v_lshrrev_b32_e32 v23, 8, v1
	v_bfe_u32 v25, v1, 20, 11
	v_cndmask_b32_e64 v0, 0, 1, s0
	v_cmp_gt_i32_e64 s0, 1, v24
	v_and_or_b32 v2, 0x8000, v7, v2
	v_lshrrev_b32_e32 v1, 16, v1
	v_and_or_b32 v0, 0xffe, v23, v0
	v_sub_nc_u32_e32 v23, 0x3f1, v25
	v_cndmask_b32_e64 v14, v14, v8, s0
	v_mul_f64 v[7:8], v[9:10], s[4:5]
	v_lshl_or_b32 v2, v2, 16, v21
	v_or_b32_e32 v9, 0x1000, v0
	v_med3_i32 v10, v23, 0, 13
	v_and_b32_e32 v27, 7, v14
	v_lshrrev_b32_e32 v14, 2, v14
	v_add_nc_u32_e32 v25, 0xfffffc10, v25
	global_store_dword v[5:6], v2, off
	v_lshrrev_b32_e32 v21, v10, v9
	v_cmp_lt_i32_e64 s0, 5, v27
	v_cmp_eq_u32_e64 s1, 3, v27
	v_lshlrev_b32_e32 v10, v10, v21
	s_or_b32 s0, s1, s0
	v_add_co_ci_u32_e64 v14, s0, 0, v14, s0
	v_cmp_ne_u32_e64 s0, v10, v9
	ds_read2_b32 v[9:10], v22 offset0:96 offset1:240
	v_and_or_b32 v7, 0x1ff, v8, v7
	v_lshrrev_b32_e32 v26, 8, v8
	v_cndmask_b32_e64 v23, 0, 1, s0
	v_cmp_ne_u32_e64 s0, 0, v12
	v_cvt_f64_f32_e32 v[11:12], v11
	v_bfe_u32 v27, v8, 20, 11
	v_lshrrev_b32_e32 v8, 16, v8
	v_or_b32_e32 v21, v21, v23
	v_cndmask_b32_e64 v22, 0, 1, s0
	v_cmp_ne_u32_e64 s0, 0, v7
	v_lshl_or_b32 v23, v25, 12, v0
	v_lshl_or_b32 v22, v22, 9, 0x7c00
	v_cndmask_b32_e64 v7, 0, 1, s0
	v_cmp_gt_i32_e64 s0, 1, v25
	s_waitcnt lgkmcnt(0)
	v_lshrrev_b32_e32 v29, 16, v9
	v_and_or_b32 v7, 0xffe, v26, v7
	v_cndmask_b32_e64 v21, v23, v21, s0
	v_cmp_gt_i32_e64 s0, 31, v24
	v_sub_nc_u32_e32 v23, 0x3f1, v27
	v_or_b32_e32 v28, 0x1000, v7
	v_and_b32_e32 v26, 7, v21
	v_cndmask_b32_e64 v14, 0x7c00, v14, s0
	v_cmp_eq_u32_e64 s0, 0x40f, v24
	v_med3_i32 v23, v23, 0, 13
	v_lshrrev_b32_e32 v24, 16, v13
	v_cmp_eq_u32_e64 s1, 3, v26
	v_mul_f16_sdwa v13, v73, v29 dst_sel:DWORD dst_unused:UNUSED_PAD src0_sel:WORD_1 src1_sel:DWORD
	v_cndmask_b32_e64 v22, v14, v22, s0
	v_cmp_lt_i32_e64 s0, 5, v26
	v_lshrrev_b32_e32 v30, v23, v28
	v_lshrrev_b32_e32 v14, 2, v21
	v_mul_f64 v[11:12], v[11:12], s[4:5]
	v_fmac_f16_e32 v13, v73, v9
	s_or_b32 s0, s1, s0
	v_lshlrev_b32_e32 v21, v23, v30
	v_add_co_ci_u32_e64 v23, s0, 0, v14, s0
	v_cmp_ne_u32_e64 s0, 0, v0
	v_cvt_f32_f16_e32 v13, v13
	v_add_nc_u32_e32 v26, 0xfffffc10, v27
	v_and_or_b32 v22, 0x8000, v24, v22
	v_mul_f16_sdwa v9, v73, v9 dst_sel:DWORD dst_unused:UNUSED_PAD src0_sel:WORD_1 src1_sel:DWORD
	v_cndmask_b32_e64 v0, 0, 1, s0
	v_cmp_ne_u32_e64 s0, v21, v28
	v_cvt_f64_f32_e32 v[13:14], v13
	v_lshl_or_b32 v24, v26, 12, v7
	v_fma_f16 v9, v73, v29, -v9
	v_lshl_or_b32 v0, v0, 9, 0x7c00
	v_cndmask_b32_e64 v21, 0, 1, s0
	v_cmp_gt_i32_e64 s0, 31, v25
	v_cvt_f32_f16_e32 v9, v9
	v_or_b32_e32 v21, v30, v21
	v_cndmask_b32_e64 v23, 0x7c00, v23, s0
	v_cmp_eq_u32_e64 s0, 0x40f, v25
	v_and_or_b32 v11, 0x1ff, v12, v11
	v_cndmask_b32_e64 v0, v23, v0, s0
	v_cmp_gt_i32_e64 s0, 1, v26
	v_bfe_u32 v23, v12, 20, 11
	v_and_or_b32 v0, 0x8000, v1, v0
	v_cndmask_b32_e64 v21, v24, v21, s0
	v_cmp_ne_u32_e64 s0, 0, v11
	v_and_b32_e32 v1, 0xffff, v22
	v_lshrrev_b32_e32 v22, 8, v12
	v_and_b32_e32 v2, 7, v21
	v_cndmask_b32_e64 v11, 0, 1, s0
	v_lshl_or_b32 v24, v0, 16, v1
	v_mul_f64 v[0:1], v[13:14], s[4:5]
	v_sub_nc_u32_e32 v13, 0x3f1, v23
	v_cmp_lt_i32_e64 s0, 5, v2
	v_cmp_eq_u32_e64 s1, 3, v2
	v_and_or_b32 v11, 0xffe, v22, v11
	v_lshrrev_b32_e32 v2, 2, v21
	v_med3_i32 v13, v13, 0, 13
	v_add_nc_u32_e32 v23, 0xfffffc10, v23
	s_or_b32 s0, s1, s0
	v_or_b32_e32 v21, 0x1000, v11
	v_add_co_ci_u32_e64 v2, s0, 0, v2, s0
	v_add_co_u32 v5, s0, v5, s6
	v_add_co_ci_u32_e64 v6, s0, s7, v6, s0
	v_lshrrev_b32_e32 v22, v13, v21
	v_cmp_gt_i32_e64 s0, 31, v26
	global_store_dword v[5:6], v24, off
	v_lshlrev_b32_e32 v25, v13, v22
	v_cndmask_b32_e64 v2, 0x7c00, v2, s0
	v_cmp_ne_u32_e64 s0, 0, v7
	v_and_or_b32 v0, 0x1ff, v1, v0
	v_cvt_f64_f32_e32 v[13:14], v9
	v_cndmask_b32_e64 v7, 0, 1, s0
	v_cmp_ne_u32_e64 s0, v25, v21
	v_lshrrev_b32_e32 v21, 8, v1
	v_bfe_u32 v25, v1, 20, 11
	v_lshrrev_b32_e32 v1, 16, v1
	v_lshl_or_b32 v7, v7, 9, 0x7c00
	v_cndmask_b32_e64 v9, 0, 1, s0
	v_cmp_ne_u32_e64 s0, 0, v0
	v_or_b32_e32 v9, v22, v9
	v_cndmask_b32_e64 v0, 0, 1, s0
	v_cmp_eq_u32_e64 s0, 0x40f, v26
	v_lshl_or_b32 v22, v23, 12, v11
	v_and_or_b32 v0, 0xffe, v21, v0
	v_sub_nc_u32_e32 v21, 0x3f1, v25
	v_cndmask_b32_e64 v2, v2, v7, s0
	v_cmp_gt_i32_e64 s0, 1, v23
	v_mul_f64 v[13:14], v[13:14], s[4:5]
	v_or_b32_e32 v7, 0x1000, v0
	v_med3_i32 v21, v21, 0, 13
	v_and_or_b32 v2, 0x8000, v8, v2
	v_cndmask_b32_e64 v9, v22, v9, s0
	v_lshrrev_b32_e32 v22, 16, v10
	v_lshrrev_b32_e32 v26, v21, v7
	v_and_b32_e32 v27, 7, v9
	v_mul_f16_sdwa v24, v72, v22 dst_sel:DWORD dst_unused:UNUSED_PAD src0_sel:WORD_1 src1_sel:DWORD
	v_lshrrev_b32_e32 v9, 2, v9
	v_lshlrev_b32_e32 v8, v21, v26
	v_add_nc_u32_e32 v21, 0xfffffc10, v25
	v_cmp_lt_i32_e64 s0, 5, v27
	v_cmp_eq_u32_e64 s1, 3, v27
	v_fmac_f16_e32 v24, v72, v10
	v_cmp_ne_u32_e64 s2, v8, v7
	v_lshl_or_b32 v25, v21, 12, v0
	v_mul_f16_sdwa v10, v72, v10 dst_sel:DWORD dst_unused:UNUSED_PAD src0_sel:WORD_1 src1_sel:DWORD
	s_or_b32 s0, s1, s0
	v_cvt_f32_f16_e32 v8, v24
	v_add_co_ci_u32_e64 v9, s0, 0, v9, s0
	v_cndmask_b32_e64 v7, 0, 1, s2
	v_cmp_ne_u32_e64 s0, 0, v11
	v_and_or_b32 v13, 0x1ff, v14, v13
	v_or_b32_e32 v24, v26, v7
	v_cndmask_b32_e64 v11, 0, 1, s0
	v_cmp_gt_i32_e64 s0, 1, v21
	v_cvt_f64_f32_e32 v[7:8], v8
	v_bfe_u32 v26, v14, 20, 11
	v_lshl_or_b32 v11, v11, 9, 0x7c00
	v_cndmask_b32_e64 v24, v25, v24, s0
	v_cmp_ne_u32_e64 s0, 0, v13
	v_lshrrev_b32_e32 v25, 8, v14
	v_lshrrev_b32_e32 v14, 16, v14
	v_and_b32_e32 v27, 7, v24
	v_cndmask_b32_e64 v13, 0, 1, s0
	v_cmp_gt_i32_e64 s0, 31, v23
	v_lshrrev_b32_e32 v24, 2, v24
	v_cmp_eq_u32_e64 s1, 3, v27
	v_and_or_b32 v13, 0xffe, v25, v13
	v_cndmask_b32_e64 v9, 0x7c00, v9, s0
	v_sub_nc_u32_e32 v25, 0x3f1, v26
	v_cmp_eq_u32_e64 s0, 0x40f, v23
	v_med3_i32 v23, v25, 0, 13
	v_cndmask_b32_e64 v9, v9, v11, s0
	v_lshrrev_b32_e32 v11, 16, v12
	v_or_b32_e32 v12, 0x1000, v13
	v_cmp_lt_i32_e64 s0, 5, v27
	v_mul_f64 v[7:8], v[7:8], s[4:5]
	v_and_or_b32 v25, 0x8000, v11, v9
	v_lshrrev_b32_e32 v9, v23, v12
	s_or_b32 s0, s1, s0
	v_add_co_ci_u32_e64 v11, s0, 0, v24, s0
	v_lshlrev_b32_e32 v23, v23, v9
	v_cmp_gt_i32_e64 s0, 31, v21
	v_and_b32_e32 v24, 0xffff, v2
	v_fma_f16 v2, v72, v22, -v10
	v_add_nc_u32_e32 v22, 0xfffffc10, v26
	v_cndmask_b32_e64 v27, 0x7c00, v11, s0
	v_cmp_ne_u32_e64 s0, v23, v12
	v_cvt_f32_f16_e32 v11, v2
	v_lshl_or_b32 v26, v22, 12, v13
	v_add_nc_u32_e32 v2, 0x1200, v68
	v_lshl_or_b32 v25, v25, 16, v24
	v_cndmask_b32_e64 v10, 0, 1, s0
	v_cmp_ne_u32_e64 s0, 0, v0
	v_and_or_b32 v7, 0x1ff, v8, v7
	v_bfe_u32 v28, v8, 20, 11
	v_or_b32_e32 v23, v9, v10
	v_cndmask_b32_e64 v0, 0, 1, s0
	v_cmp_gt_i32_e64 s0, 1, v22
	v_cvt_f64_f32_e32 v[9:10], v11
	ds_read2_b32 v[11:12], v2 offset1:144
	v_lshl_or_b32 v0, v0, 9, 0x7c00
	v_cndmask_b32_e64 v23, v26, v23, s0
	v_cmp_ne_u32_e64 s0, 0, v7
	v_lshrrev_b32_e32 v26, 8, v8
	v_cndmask_b32_e64 v7, 0, 1, s0
	v_cmp_eq_u32_e64 s0, 0x40f, v21
	v_and_b32_e32 v21, 7, v23
	v_and_or_b32 v7, 0xffe, v26, v7
	v_sub_nc_u32_e32 v26, 0x3f1, v28
	v_cndmask_b32_e64 v0, v27, v0, s0
	v_cmp_lt_i32_e64 s0, 5, v21
	v_cmp_eq_u32_e64 s1, 3, v21
	v_lshrrev_b32_e32 v21, 2, v23
	v_or_b32_e32 v27, 0x1000, v7
	v_med3_i32 v26, v26, 0, 13
	v_and_or_b32 v24, 0x8000, v1, v0
	s_or_b32 s0, s1, s0
	v_mul_f64 v[0:1], v[9:10], s[4:5]
	v_add_co_ci_u32_e64 v10, s0, 0, v21, s0
	v_lshrrev_b32_e32 v9, v26, v27
	v_cmp_ne_u32_e64 s0, 0, v13
	s_waitcnt lgkmcnt(0)
	v_lshrrev_b32_e32 v23, 16, v11
	v_lshlrev_b32_e32 v26, v26, v9
	v_cndmask_b32_e64 v13, 0, 1, s0
	v_cmp_gt_i32_e64 s0, 31, v22
	v_mul_f16_sdwa v21, v71, v23 dst_sel:DWORD dst_unused:UNUSED_PAD src0_sel:WORD_1 src1_sel:DWORD
	v_lshl_or_b32 v13, v13, 9, 0x7c00
	v_cndmask_b32_e64 v10, 0x7c00, v10, s0
	v_cmp_ne_u32_e64 s0, v26, v27
	v_fmac_f16_e32 v21, v71, v11
	v_add_nc_u32_e32 v27, 0xfffffc10, v28
	v_mul_f16_sdwa v11, v71, v11 dst_sel:DWORD dst_unused:UNUSED_PAD src0_sel:WORD_1 src1_sel:DWORD
	v_cndmask_b32_e64 v26, 0, 1, s0
	v_cmp_eq_u32_e64 s0, 0x40f, v22
	v_cvt_f32_f16_e32 v21, v21
	v_and_or_b32 v0, 0x1ff, v1, v0
	v_fma_f16 v11, v71, v23, -v11
	v_or_b32_e32 v22, v9, v26
	v_cndmask_b32_e64 v13, v10, v13, s0
	v_lshl_or_b32 v26, v27, 12, v7
	v_cmp_gt_i32_e64 s0, 1, v27
	v_cvt_f64_f32_e32 v[9:10], v21
	v_cvt_f32_f16_e32 v11, v11
	v_and_or_b32 v13, 0x8000, v14, v13
	v_and_b32_e32 v14, 0xffff, v24
	v_cndmask_b32_e64 v21, v26, v22, s0
	v_cmp_ne_u32_e64 s0, 0, v0
	v_lshrrev_b32_e32 v22, 8, v1
	v_bfe_u32 v26, v1, 20, 11
	v_lshrrev_b32_e32 v1, 16, v1
	v_and_b32_e32 v24, 7, v21
	v_cndmask_b32_e64 v0, 0, 1, s0
	v_add_co_u32 v5, s0, v5, s6
	v_add_co_ci_u32_e64 v6, s0, s7, v6, s0
	v_and_or_b32 v0, 0xffe, v22, v0
	v_sub_nc_u32_e32 v22, 0x3f1, v26
	v_cmp_lt_i32_e64 s0, 5, v24
	v_cmp_eq_u32_e64 s1, 3, v24
	v_lshrrev_b32_e32 v21, 2, v21
	v_or_b32_e32 v28, 0x1000, v0
	v_med3_i32 v22, v22, 0, 13
	v_mul_f64 v[9:10], v[9:10], s[4:5]
	s_or_b32 s0, s1, s0
	v_add_nc_u32_e32 v26, 0xfffffc10, v26
	v_add_co_ci_u32_e64 v23, s0, 0, v21, s0
	v_lshrrev_b32_e32 v24, v22, v28
	v_lshl_or_b32 v29, v13, 16, v14
	v_add_co_u32 v13, s2, v5, s6
	v_add_co_ci_u32_e64 v14, s2, s7, v6, s2
	v_lshlrev_b32_e32 v22, v22, v24
	v_cmp_ne_u32_e64 s0, v22, v28
	v_cndmask_b32_e64 v21, 0, 1, s0
	v_cmp_ne_u32_e64 s0, 0, v7
	v_and_or_b32 v9, 0x1ff, v10, v9
	v_bfe_u32 v28, v10, 20, 11
	v_or_b32_e32 v24, v24, v21
	v_cndmask_b32_e64 v7, 0, 1, s0
	v_cmp_gt_i32_e64 s0, 31, v27
	v_cvt_f64_f32_e32 v[21:22], v11
	v_lshl_or_b32 v11, v26, 12, v0
	v_lshl_or_b32 v7, v7, 9, 0x7c00
	v_cndmask_b32_e64 v23, 0x7c00, v23, s0
	v_cmp_gt_i32_e64 s0, 1, v26
	v_cndmask_b32_e64 v11, v11, v24, s0
	v_cmp_ne_u32_e64 s0, 0, v9
	v_lshrrev_b32_e32 v24, 8, v10
	v_and_b32_e32 v30, 7, v11
	v_cndmask_b32_e64 v9, 0, 1, s0
	v_cmp_eq_u32_e64 s0, 0x40f, v27
	v_lshrrev_b32_e32 v11, 2, v11
	v_cmp_eq_u32_e64 s1, 3, v30
	v_and_or_b32 v9, 0xffe, v24, v9
	v_cndmask_b32_e64 v23, v23, v7, s0
	v_sub_nc_u32_e32 v7, 0x3f1, v28
	v_cmp_lt_i32_e64 s0, 5, v30
	v_lshrrev_b32_e32 v24, 16, v8
	v_or_b32_e32 v27, 0x1000, v9
	v_add_nc_u32_e32 v28, 0xfffffc10, v28
	v_med3_i32 v30, v7, 0, 13
	v_mul_f64 v[7:8], v[21:22], s[4:5]
	s_or_b32 s0, s1, s0
	v_and_or_b32 v23, 0x8000, v24, v23
	v_add_co_ci_u32_e64 v11, s0, 0, v11, s0
	v_lshrrev_b32_e32 v21, v30, v27
	v_cmp_ne_u32_e64 s0, 0, v0
	v_lshrrev_b32_e32 v24, 16, v12
	v_and_b32_e32 v23, 0xffff, v23
	v_lshlrev_b32_e32 v30, v30, v21
	v_cndmask_b32_e64 v0, 0, 1, s0
	v_cmp_gt_i32_e64 s0, 31, v26
	v_mul_f16_sdwa v22, v70, v24 dst_sel:DWORD dst_unused:UNUSED_PAD src0_sel:WORD_1 src1_sel:DWORD
	v_lshl_or_b32 v0, v0, 9, 0x7c00
	v_cndmask_b32_e64 v11, 0x7c00, v11, s0
	v_cmp_ne_u32_e64 s0, v30, v27
	v_fmac_f16_e32 v22, v70, v12
	v_mul_f16_sdwa v12, v70, v12 dst_sel:DWORD dst_unused:UNUSED_PAD src0_sel:WORD_1 src1_sel:DWORD
	v_and_or_b32 v7, 0x1ff, v8, v7
	v_cndmask_b32_e64 v27, 0, 1, s0
	v_cmp_eq_u32_e64 s0, 0x40f, v26
	v_cvt_f32_f16_e32 v22, v22
	v_lshl_or_b32 v26, v28, 12, v9
	v_bfe_u32 v30, v8, 20, 11
	v_fma_f16 v12, v70, v24, -v12
	v_cndmask_b32_e64 v0, v11, v0, s0
	v_cmp_ne_u32_e64 s0, 0, v7
	v_or_b32_e32 v11, v21, v27
	v_cvt_f64_f32_e32 v[21:22], v22
	v_lshrrev_b32_e32 v27, 8, v8
	v_sub_nc_u32_e32 v24, 0x3f1, v30
	v_cndmask_b32_e64 v7, 0, 1, s0
	v_cmp_gt_i32_e64 s0, 1, v28
	v_cvt_f32_f16_e32 v12, v12
	v_and_or_b32 v31, 0x8000, v1, v0
	v_med3_i32 v24, v24, 0, 13
	v_and_or_b32 v7, 0xffe, v27, v7
	v_cndmask_b32_e64 v11, v26, v11, s0
	v_cvt_f64_f32_e32 v[0:1], v12
	v_lshl_or_b32 v31, v31, 16, v23
	v_lshrrev_b32_e32 v8, 16, v8
	v_or_b32_e32 v27, 0x1000, v7
	v_and_b32_e32 v26, 7, v11
	v_lshrrev_b32_e32 v32, v24, v27
	v_cmp_lt_i32_e64 s0, 5, v26
	v_cmp_eq_u32_e64 s1, 3, v26
	v_lshrrev_b32_e32 v26, 2, v11
	v_mul_f64 v[11:12], v[21:22], s[4:5]
	v_lshlrev_b32_e32 v21, v24, v32
	s_or_b32 s0, s1, s0
	v_add_co_ci_u32_e64 v22, s0, 0, v26, s0
	v_cmp_ne_u32_e64 s0, 0, v9
	v_add_nc_u32_e32 v26, 0xfffffc10, v30
	v_cndmask_b32_e64 v9, 0, 1, s0
	v_cmp_ne_u32_e64 s0, v21, v27
	v_lshl_or_b32 v27, v26, 12, v7
	v_lshl_or_b32 v9, v9, 9, 0x7c00
	v_cndmask_b32_e64 v21, 0, 1, s0
	v_cmp_gt_i32_e64 s0, 31, v28
	v_and_or_b32 v11, 0x1ff, v12, v11
	v_or_b32_e32 v24, v32, v21
	v_cndmask_b32_e64 v23, 0x7c00, v22, s0
	v_cmp_eq_u32_e64 s0, 0x40f, v28
	v_mul_f64 v[21:22], v[0:1], s[4:5]
	v_lshrrev_b32_e32 v1, 16, v10
	v_bfe_u32 v28, v12, 20, 11
	v_cndmask_b32_e64 v0, v23, v9, s0
	v_cmp_gt_i32_e64 s0, 1, v26
	v_cndmask_b32_e64 v23, v27, v24, s0
	v_add_co_u32 v9, s0, v13, s6
	v_add_co_ci_u32_e64 v10, s0, s7, v14, s0
	v_cmp_ne_u32_e64 s0, 0, v11
	v_and_or_b32 v27, 0x8000, v1, v0
	v_and_b32_e32 v0, 7, v23
	v_lshrrev_b32_e32 v11, 8, v12
	v_cndmask_b32_e64 v1, 0, 1, s0
	v_cmp_lt_i32_e64 s0, 5, v0
	v_cmp_eq_u32_e64 s1, 3, v0
	v_lshrrev_b32_e32 v0, 2, v23
	v_and_or_b32 v11, 0xffe, v11, v1
	v_sub_nc_u32_e32 v1, 0x3f1, v28
	v_and_or_b32 v21, 0x1ff, v22, v21
	s_or_b32 s0, s1, s0
	v_lshrrev_b32_e32 v23, 8, v22
	v_add_co_ci_u32_e64 v0, s0, 0, v0, s0
	v_or_b32_e32 v30, 0x1000, v11
	v_med3_i32 v1, v1, 0, 13
	v_cmp_ne_u32_e64 s0, 0, v21
	v_bfe_u32 v32, v22, 20, 11
	v_add_nc_u32_e32 v28, 0xfffffc10, v28
	v_lshrrev_b32_e32 v22, 16, v22
	v_lshrrev_b32_e32 v33, v1, v30
	v_cndmask_b32_e64 v21, 0, 1, s0
	v_cmp_ne_u32_e64 s0, 0, v7
	v_cmp_gt_i32_e64 s2, 31, v28
	v_lshlrev_b32_e32 v1, v1, v33
	v_and_or_b32 v21, 0xffe, v23, v21
	v_cndmask_b32_e64 v7, 0, 1, s0
	v_sub_nc_u32_e32 v23, 0x3f1, v32
	v_cmp_gt_i32_e64 s0, 31, v26
	v_add_nc_u32_e32 v32, 0xfffffc10, v32
	v_or_b32_e32 v34, 0x1000, v21
	v_lshl_or_b32 v7, v7, 9, 0x7c00
	v_med3_i32 v35, v23, 0, 13
	v_cndmask_b32_e64 v0, 0x7c00, v0, s0
	v_cmp_ne_u32_e64 s0, v1, v30
	v_mad_u64_u32 v[23:24], null, s8, v69, 0
	v_lshrrev_b32_e32 v30, v35, v34
	v_cmp_gt_i32_e64 s1, 1, v32
	v_cndmask_b32_e64 v1, 0, 1, s0
	v_cmp_eq_u32_e64 s0, 0x40f, v26
	v_lshl_or_b32 v26, v28, 12, v11
	v_or_b32_e32 v1, v33, v1
	v_cndmask_b32_e64 v7, v0, v7, s0
	v_lshlrev_b32_e32 v33, v35, v30
	v_cmp_gt_i32_e64 s0, 1, v28
	v_mov_b32_e32 v0, v24
	v_and_or_b32 v7, 0x8000, v8, v7
	v_and_b32_e32 v8, 0xffff, v27
	v_cndmask_b32_e64 v26, v26, v1, s0
	v_cmp_ne_u32_e64 s0, v33, v34
	v_mad_u64_u32 v[0:1], null, s9, v69, v[0:1]
	v_and_b32_e32 v1, 7, v26
	v_cndmask_b32_e64 v24, 0, 1, s0
	v_cmp_lt_i32_e64 s0, 5, v1
	v_or_b32_e32 v24, v30, v24
	v_lshl_or_b32 v30, v32, 12, v21
	v_cndmask_b32_e64 v27, v30, v24, s1
	v_cmp_eq_u32_e64 s1, 3, v1
	v_mov_b32_e32 v24, v0
	v_lshrrev_b32_e32 v0, 2, v26
	v_lshl_or_b32 v26, v7, 16, v8
	v_and_b32_e32 v1, 7, v27
	s_or_b32 s0, s1, s0
	v_add_co_ci_u32_e64 v0, s0, 0, v0, s0
	v_cmp_ne_u32_e64 s0, 0, v11
	v_cmp_eq_u32_e64 s1, 3, v1
	v_cndmask_b32_e64 v8, 0x7c00, v0, s2
	v_cndmask_b32_e64 v7, 0, 1, s0
	v_cmp_lt_i32_e64 s0, 5, v1
	v_lshrrev_b32_e32 v1, 2, v27
	v_lshl_or_b32 v7, v7, 9, 0x7c00
	s_or_b32 s0, s1, s0
	v_add_co_ci_u32_e64 v11, s0, 0, v1, s0
	v_cmp_ne_u32_e64 s0, 0, v21
	v_mad_u64_u32 v[0:1], null, 0x480, s8, v[9:10]
	v_cndmask_b32_e64 v21, 0, 1, s0
	v_cmp_gt_i32_e64 s0, 31, v32
	v_lshl_or_b32 v21, v21, 9, 0x7c00
	v_cndmask_b32_e64 v11, 0x7c00, v11, s0
	v_cmp_eq_u32_e64 s0, 0x40f, v28
	v_cndmask_b32_e64 v7, v8, v7, s0
	v_lshrrev_b32_e32 v8, 16, v12
	v_cmp_eq_u32_e64 s0, 0x40f, v32
	v_and_or_b32 v27, 0x8000, v8, v7
	v_cndmask_b32_e64 v21, v11, v21, s0
	v_mad_u64_u32 v[11:12], null, 0x480, s9, v[1:2]
	v_lshlrev_b64 v[7:8], 2, v[23:24]
	v_and_b32_e32 v12, 0xffff, v27
	v_and_or_b32 v1, 0x8000, v22, v21
	v_add_co_u32 v3, s0, v3, v7
	v_lshl_or_b32 v7, v1, 16, v12
	v_mov_b32_e32 v1, v11
	v_add_co_ci_u32_e64 v4, s0, v4, v8, s0
	global_store_dword v[5:6], v25, off
	global_store_dword v[13:14], v29, off
	;; [unrolled: 1-line block ×5, first 2 shown]
	s_and_b32 exec_lo, exec_lo, vcc_lo
	s_cbranch_execz .LBB0_31
; %bb.30:
	global_load_dword v5, v[19:20], off offset:360
	ds_read2_b32 v[3:4], v68 offset0:90 offset1:234
	v_mad_u64_u32 v[0:1], null, 0xffffed28, s8, v[0:1]
	s_waitcnt lgkmcnt(0)
	v_lshrrev_b32_e32 v6, 16, v3
	s_waitcnt vmcnt(0)
	v_mul_f16_sdwa v7, v6, v5 dst_sel:DWORD dst_unused:UNUSED_PAD src0_sel:DWORD src1_sel:WORD_1
	v_mul_f16_sdwa v8, v3, v5 dst_sel:DWORD dst_unused:UNUSED_PAD src0_sel:DWORD src1_sel:WORD_1
	v_fmac_f16_e32 v7, v3, v5
	v_fma_f16 v3, v5, v6, -v8
	v_cvt_f32_f16_e32 v5, v7
	v_cvt_f32_f16_e32 v3, v3
	v_cvt_f64_f32_e32 v[5:6], v5
	v_cvt_f64_f32_e32 v[7:8], v3
	v_mul_f64 v[5:6], v[5:6], s[4:5]
	v_mul_f64 v[7:8], v[7:8], s[4:5]
	v_and_or_b32 v3, 0x1ff, v6, v5
	v_and_or_b32 v7, 0x1ff, v8, v7
	v_lshrrev_b32_e32 v5, 8, v6
	v_bfe_u32 v9, v6, 20, 11
	v_lshrrev_b32_e32 v10, 8, v8
	v_cmp_ne_u32_e32 vcc_lo, 0, v3
	v_bfe_u32 v11, v8, 20, 11
	v_lshrrev_b32_e32 v6, 16, v6
	v_sub_nc_u32_e32 v12, 0x3f1, v9
	v_add_nc_u32_e32 v9, 0xfffffc10, v9
	v_cndmask_b32_e64 v3, 0, 1, vcc_lo
	v_cmp_ne_u32_e32 vcc_lo, 0, v7
	v_lshrrev_b32_e32 v8, 16, v8
	v_and_or_b32 v3, 0xffe, v5, v3
	v_cndmask_b32_e64 v7, 0, 1, vcc_lo
	v_sub_nc_u32_e32 v5, 0x3f1, v11
	v_add_nc_u32_e32 v11, 0xfffffc10, v11
	v_and_or_b32 v7, 0xffe, v10, v7
	v_med3_i32 v10, v12, 0, 13
	v_or_b32_e32 v12, 0x1000, v3
	v_med3_i32 v5, v5, 0, 13
	v_or_b32_e32 v13, 0x1000, v7
	v_lshrrev_b32_e32 v14, v10, v12
	v_lshrrev_b32_e32 v21, v5, v13
	v_lshlrev_b32_e32 v10, v10, v14
	v_lshlrev_b32_e32 v5, v5, v21
	v_cmp_ne_u32_e32 vcc_lo, v10, v12
	v_lshl_or_b32 v12, v9, 12, v3
	v_cndmask_b32_e64 v10, 0, 1, vcc_lo
	v_cmp_ne_u32_e32 vcc_lo, v5, v13
	v_lshl_or_b32 v13, v11, 12, v7
	v_or_b32_e32 v10, v14, v10
	v_cndmask_b32_e64 v5, 0, 1, vcc_lo
	v_cmp_gt_i32_e32 vcc_lo, 1, v9
	v_or_b32_e32 v5, v21, v5
	v_cndmask_b32_e32 v10, v12, v10, vcc_lo
	v_cmp_gt_i32_e32 vcc_lo, 1, v11
	v_and_b32_e32 v12, 7, v10
	v_cndmask_b32_e32 v5, v13, v5, vcc_lo
	v_cmp_ne_u32_e32 vcc_lo, 0, v3
	v_lshrrev_b32_e32 v10, 2, v10
	v_cmp_eq_u32_e64 s0, 3, v12
	v_and_b32_e32 v13, 7, v5
	v_cndmask_b32_e64 v3, 0, 1, vcc_lo
	v_cmp_ne_u32_e32 vcc_lo, 0, v7
	v_lshrrev_b32_e32 v5, 2, v5
	v_cmp_lt_i32_e64 s1, 5, v13
	v_cmp_eq_u32_e64 s2, 3, v13
	v_cndmask_b32_e64 v7, 0, 1, vcc_lo
	v_cmp_lt_i32_e32 vcc_lo, 5, v12
	v_lshl_or_b32 v3, v3, 9, 0x7c00
	v_lshl_or_b32 v7, v7, 9, 0x7c00
	s_or_b32 vcc_lo, s0, vcc_lo
	s_mul_i32 s0, s9, 0xffffed28
	v_add_co_ci_u32_e32 v10, vcc_lo, 0, v10, vcc_lo
	s_or_b32 vcc_lo, s2, s1
	s_sub_i32 s0, s0, s8
	v_add_co_ci_u32_e32 v5, vcc_lo, 0, v5, vcc_lo
	v_cmp_gt_i32_e32 vcc_lo, 31, v9
	v_add_nc_u32_e32 v1, s0, v1
	v_cndmask_b32_e32 v10, 0x7c00, v10, vcc_lo
	v_cmp_gt_i32_e32 vcc_lo, 31, v11
	v_cndmask_b32_e32 v5, 0x7c00, v5, vcc_lo
	v_cmp_eq_u32_e32 vcc_lo, 0x40f, v9
	v_cndmask_b32_e32 v3, v10, v3, vcc_lo
	v_cmp_eq_u32_e32 vcc_lo, 0x40f, v11
	v_and_or_b32 v3, 0x8000, v6, v3
	v_cndmask_b32_e32 v5, v5, v7, vcc_lo
	v_and_b32_e32 v3, 0xffff, v3
	v_and_or_b32 v5, 0x8000, v8, v5
	v_lshl_or_b32 v3, v5, 16, v3
	v_lshrrev_b32_e32 v5, 16, v4
	global_store_dword v[0:1], v3, off
	global_load_dword v3, v[19:20], off offset:936
	s_waitcnt vmcnt(0)
	v_mul_f16_sdwa v6, v5, v3 dst_sel:DWORD dst_unused:UNUSED_PAD src0_sel:DWORD src1_sel:WORD_1
	v_mul_f16_sdwa v7, v4, v3 dst_sel:DWORD dst_unused:UNUSED_PAD src0_sel:DWORD src1_sel:WORD_1
	v_fmac_f16_e32 v6, v4, v3
	v_fma_f16 v3, v3, v5, -v7
	v_cvt_f32_f16_e32 v4, v6
	v_cvt_f32_f16_e32 v5, v3
	v_cvt_f64_f32_e32 v[3:4], v4
	v_cvt_f64_f32_e32 v[5:6], v5
	v_mul_f64 v[3:4], v[3:4], s[4:5]
	v_mul_f64 v[5:6], v[5:6], s[4:5]
	v_and_or_b32 v3, 0x1ff, v4, v3
	v_and_or_b32 v5, 0x1ff, v6, v5
	v_lshrrev_b32_e32 v7, 8, v4
	v_bfe_u32 v8, v4, 20, 11
	v_lshrrev_b32_e32 v9, 8, v6
	v_cmp_ne_u32_e32 vcc_lo, 0, v3
	v_bfe_u32 v10, v6, 20, 11
	v_lshrrev_b32_e32 v4, 16, v4
	v_sub_nc_u32_e32 v11, 0x3f1, v8
	v_add_nc_u32_e32 v8, 0xfffffc10, v8
	v_cndmask_b32_e64 v3, 0, 1, vcc_lo
	v_cmp_ne_u32_e32 vcc_lo, 0, v5
	v_lshrrev_b32_e32 v6, 16, v6
	v_and_or_b32 v3, 0xffe, v7, v3
	v_cndmask_b32_e64 v5, 0, 1, vcc_lo
	v_sub_nc_u32_e32 v7, 0x3f1, v10
	v_add_nc_u32_e32 v10, 0xfffffc10, v10
	v_and_or_b32 v5, 0xffe, v9, v5
	v_med3_i32 v9, v11, 0, 13
	v_or_b32_e32 v11, 0x1000, v3
	v_med3_i32 v7, v7, 0, 13
	v_or_b32_e32 v12, 0x1000, v5
	v_lshrrev_b32_e32 v13, v9, v11
	v_lshrrev_b32_e32 v14, v7, v12
	v_lshlrev_b32_e32 v9, v9, v13
	v_lshlrev_b32_e32 v7, v7, v14
	v_cmp_ne_u32_e32 vcc_lo, v9, v11
	v_lshl_or_b32 v11, v8, 12, v3
	v_cndmask_b32_e64 v9, 0, 1, vcc_lo
	v_cmp_ne_u32_e32 vcc_lo, v7, v12
	v_lshl_or_b32 v12, v10, 12, v5
	v_or_b32_e32 v9, v13, v9
	v_cndmask_b32_e64 v7, 0, 1, vcc_lo
	v_cmp_gt_i32_e32 vcc_lo, 1, v8
	v_or_b32_e32 v7, v14, v7
	v_cndmask_b32_e32 v9, v11, v9, vcc_lo
	v_cmp_gt_i32_e32 vcc_lo, 1, v10
	v_and_b32_e32 v11, 7, v9
	v_cndmask_b32_e32 v7, v12, v7, vcc_lo
	v_cmp_ne_u32_e32 vcc_lo, 0, v3
	v_lshrrev_b32_e32 v9, 2, v9
	v_cmp_eq_u32_e64 s0, 3, v11
	v_and_b32_e32 v12, 7, v7
	v_cndmask_b32_e64 v3, 0, 1, vcc_lo
	v_cmp_ne_u32_e32 vcc_lo, 0, v5
	v_lshrrev_b32_e32 v7, 2, v7
	v_cmp_lt_i32_e64 s1, 5, v12
	v_cmp_eq_u32_e64 s2, 3, v12
	v_cndmask_b32_e64 v5, 0, 1, vcc_lo
	v_cmp_lt_i32_e32 vcc_lo, 5, v11
	v_lshl_or_b32 v3, v3, 9, 0x7c00
	v_lshl_or_b32 v5, v5, 9, 0x7c00
	s_or_b32 vcc_lo, s0, vcc_lo
	v_add_co_ci_u32_e32 v9, vcc_lo, 0, v9, vcc_lo
	s_or_b32 vcc_lo, s2, s1
	v_add_co_ci_u32_e32 v7, vcc_lo, 0, v7, vcc_lo
	v_cmp_gt_i32_e32 vcc_lo, 31, v8
	v_cndmask_b32_e32 v9, 0x7c00, v9, vcc_lo
	v_cmp_gt_i32_e32 vcc_lo, 31, v10
	v_cndmask_b32_e32 v7, 0x7c00, v7, vcc_lo
	v_cmp_eq_u32_e32 vcc_lo, 0x40f, v8
	v_cndmask_b32_e32 v3, v9, v3, vcc_lo
	v_cmp_eq_u32_e32 vcc_lo, 0x40f, v10
	v_and_or_b32 v3, 0x8000, v4, v3
	v_cndmask_b32_e32 v5, v7, v5, vcc_lo
	v_add_co_u32 v0, vcc_lo, v0, s6
	v_add_co_ci_u32_e32 v1, vcc_lo, s7, v1, vcc_lo
	v_and_or_b32 v4, 0x8000, v6, v5
	v_and_b32_e32 v3, 0xffff, v3
	v_lshl_or_b32 v3, v4, 16, v3
	global_store_dword v[0:1], v3, off
	global_load_dword v5, v[19:20], off offset:1512
	v_add_nc_u32_e32 v3, 0x500, v68
	ds_read2_b32 v[3:4], v3 offset0:58 offset1:202
	s_waitcnt lgkmcnt(0)
	v_lshrrev_b32_e32 v6, 16, v3
	s_waitcnt vmcnt(0)
	v_mul_f16_sdwa v7, v6, v5 dst_sel:DWORD dst_unused:UNUSED_PAD src0_sel:DWORD src1_sel:WORD_1
	v_mul_f16_sdwa v8, v3, v5 dst_sel:DWORD dst_unused:UNUSED_PAD src0_sel:DWORD src1_sel:WORD_1
	v_fmac_f16_e32 v7, v3, v5
	v_fma_f16 v3, v5, v6, -v8
	v_cvt_f32_f16_e32 v5, v7
	v_cvt_f32_f16_e32 v3, v3
	v_cvt_f64_f32_e32 v[5:6], v5
	v_cvt_f64_f32_e32 v[7:8], v3
	v_mul_f64 v[5:6], v[5:6], s[4:5]
	v_mul_f64 v[7:8], v[7:8], s[4:5]
	v_and_or_b32 v3, 0x1ff, v6, v5
	v_and_or_b32 v7, 0x1ff, v8, v7
	v_lshrrev_b32_e32 v5, 8, v6
	v_bfe_u32 v9, v6, 20, 11
	v_lshrrev_b32_e32 v10, 8, v8
	v_cmp_ne_u32_e32 vcc_lo, 0, v3
	v_bfe_u32 v11, v8, 20, 11
	v_lshrrev_b32_e32 v6, 16, v6
	v_sub_nc_u32_e32 v12, 0x3f1, v9
	v_add_nc_u32_e32 v9, 0xfffffc10, v9
	v_cndmask_b32_e64 v3, 0, 1, vcc_lo
	v_cmp_ne_u32_e32 vcc_lo, 0, v7
	v_lshrrev_b32_e32 v8, 16, v8
	v_and_or_b32 v3, 0xffe, v5, v3
	v_cndmask_b32_e64 v7, 0, 1, vcc_lo
	v_sub_nc_u32_e32 v5, 0x3f1, v11
	v_add_nc_u32_e32 v11, 0xfffffc10, v11
	v_and_or_b32 v7, 0xffe, v10, v7
	v_med3_i32 v10, v12, 0, 13
	v_or_b32_e32 v12, 0x1000, v3
	v_med3_i32 v5, v5, 0, 13
	v_or_b32_e32 v13, 0x1000, v7
	v_lshrrev_b32_e32 v14, v10, v12
	v_lshrrev_b32_e32 v19, v5, v13
	v_lshlrev_b32_e32 v10, v10, v14
	v_lshlrev_b32_e32 v5, v5, v19
	v_cmp_ne_u32_e32 vcc_lo, v10, v12
	v_lshl_or_b32 v12, v9, 12, v3
	v_cndmask_b32_e64 v10, 0, 1, vcc_lo
	v_cmp_ne_u32_e32 vcc_lo, v5, v13
	v_lshl_or_b32 v13, v11, 12, v7
	v_or_b32_e32 v10, v14, v10
	v_cndmask_b32_e64 v5, 0, 1, vcc_lo
	v_cmp_gt_i32_e32 vcc_lo, 1, v9
	v_or_b32_e32 v5, v19, v5
	v_cndmask_b32_e32 v10, v12, v10, vcc_lo
	v_cmp_gt_i32_e32 vcc_lo, 1, v11
	v_and_b32_e32 v12, 7, v10
	v_cndmask_b32_e32 v5, v13, v5, vcc_lo
	v_cmp_ne_u32_e32 vcc_lo, 0, v3
	v_lshrrev_b32_e32 v10, 2, v10
	v_cmp_eq_u32_e64 s0, 3, v12
	v_and_b32_e32 v13, 7, v5
	v_cndmask_b32_e64 v3, 0, 1, vcc_lo
	v_cmp_ne_u32_e32 vcc_lo, 0, v7
	v_lshrrev_b32_e32 v5, 2, v5
	v_cmp_lt_i32_e64 s1, 5, v13
	v_cmp_eq_u32_e64 s2, 3, v13
	v_cndmask_b32_e64 v7, 0, 1, vcc_lo
	v_cmp_lt_i32_e32 vcc_lo, 5, v12
	v_lshl_or_b32 v3, v3, 9, 0x7c00
	v_lshl_or_b32 v7, v7, 9, 0x7c00
	s_or_b32 vcc_lo, s0, vcc_lo
	v_add_co_ci_u32_e32 v10, vcc_lo, 0, v10, vcc_lo
	s_or_b32 vcc_lo, s2, s1
	v_add_co_ci_u32_e32 v5, vcc_lo, 0, v5, vcc_lo
	v_cmp_gt_i32_e32 vcc_lo, 31, v9
	v_cndmask_b32_e32 v10, 0x7c00, v10, vcc_lo
	v_cmp_gt_i32_e32 vcc_lo, 31, v11
	v_cndmask_b32_e32 v5, 0x7c00, v5, vcc_lo
	v_cmp_eq_u32_e32 vcc_lo, 0x40f, v9
	v_cndmask_b32_e32 v3, v10, v3, vcc_lo
	v_cmp_eq_u32_e32 vcc_lo, 0x40f, v11
	v_and_or_b32 v3, 0x8000, v6, v3
	v_cndmask_b32_e32 v5, v5, v7, vcc_lo
	v_add_co_u32 v0, vcc_lo, v0, s6
	v_add_co_ci_u32_e32 v1, vcc_lo, s7, v1, vcc_lo
	v_and_or_b32 v5, 0x8000, v8, v5
	v_and_b32_e32 v3, 0xffff, v3
	v_lshl_or_b32 v3, v5, 16, v3
	v_lshrrev_b32_e32 v5, 16, v4
	global_store_dword v[0:1], v3, off
	global_load_dword v3, v[17:18], off offset:40
	s_waitcnt vmcnt(0)
	v_mul_f16_sdwa v6, v5, v3 dst_sel:DWORD dst_unused:UNUSED_PAD src0_sel:DWORD src1_sel:WORD_1
	v_mul_f16_sdwa v7, v4, v3 dst_sel:DWORD dst_unused:UNUSED_PAD src0_sel:DWORD src1_sel:WORD_1
	v_fmac_f16_e32 v6, v4, v3
	v_fma_f16 v3, v3, v5, -v7
	v_cvt_f32_f16_e32 v4, v6
	v_cvt_f32_f16_e32 v5, v3
	v_cvt_f64_f32_e32 v[3:4], v4
	v_cvt_f64_f32_e32 v[5:6], v5
	v_mul_f64 v[3:4], v[3:4], s[4:5]
	v_mul_f64 v[5:6], v[5:6], s[4:5]
	v_and_or_b32 v3, 0x1ff, v4, v3
	v_and_or_b32 v5, 0x1ff, v6, v5
	v_lshrrev_b32_e32 v7, 8, v4
	v_bfe_u32 v8, v4, 20, 11
	v_lshrrev_b32_e32 v9, 8, v6
	v_cmp_ne_u32_e32 vcc_lo, 0, v3
	v_bfe_u32 v10, v6, 20, 11
	v_lshrrev_b32_e32 v4, 16, v4
	v_sub_nc_u32_e32 v11, 0x3f1, v8
	v_add_nc_u32_e32 v8, 0xfffffc10, v8
	v_cndmask_b32_e64 v3, 0, 1, vcc_lo
	v_cmp_ne_u32_e32 vcc_lo, 0, v5
	v_lshrrev_b32_e32 v6, 16, v6
	v_and_or_b32 v3, 0xffe, v7, v3
	v_cndmask_b32_e64 v5, 0, 1, vcc_lo
	v_sub_nc_u32_e32 v7, 0x3f1, v10
	v_add_nc_u32_e32 v10, 0xfffffc10, v10
	v_and_or_b32 v5, 0xffe, v9, v5
	v_med3_i32 v9, v11, 0, 13
	v_or_b32_e32 v11, 0x1000, v3
	v_med3_i32 v7, v7, 0, 13
	v_or_b32_e32 v12, 0x1000, v5
	v_lshrrev_b32_e32 v13, v9, v11
	v_lshrrev_b32_e32 v14, v7, v12
	v_lshlrev_b32_e32 v9, v9, v13
	v_lshlrev_b32_e32 v7, v7, v14
	v_cmp_ne_u32_e32 vcc_lo, v9, v11
	v_lshl_or_b32 v11, v8, 12, v3
	v_cndmask_b32_e64 v9, 0, 1, vcc_lo
	v_cmp_ne_u32_e32 vcc_lo, v7, v12
	v_lshl_or_b32 v12, v10, 12, v5
	v_or_b32_e32 v9, v13, v9
	v_cndmask_b32_e64 v7, 0, 1, vcc_lo
	v_cmp_gt_i32_e32 vcc_lo, 1, v8
	v_or_b32_e32 v7, v14, v7
	v_cndmask_b32_e32 v9, v11, v9, vcc_lo
	v_cmp_gt_i32_e32 vcc_lo, 1, v10
	v_and_b32_e32 v11, 7, v9
	v_cndmask_b32_e32 v7, v12, v7, vcc_lo
	v_cmp_ne_u32_e32 vcc_lo, 0, v3
	v_lshrrev_b32_e32 v9, 2, v9
	v_cmp_eq_u32_e64 s0, 3, v11
	v_and_b32_e32 v12, 7, v7
	v_cndmask_b32_e64 v3, 0, 1, vcc_lo
	v_cmp_ne_u32_e32 vcc_lo, 0, v5
	v_lshrrev_b32_e32 v7, 2, v7
	v_cmp_lt_i32_e64 s1, 5, v12
	v_cmp_eq_u32_e64 s2, 3, v12
	v_cndmask_b32_e64 v5, 0, 1, vcc_lo
	v_cmp_lt_i32_e32 vcc_lo, 5, v11
	v_lshl_or_b32 v3, v3, 9, 0x7c00
	v_lshl_or_b32 v5, v5, 9, 0x7c00
	s_or_b32 vcc_lo, s0, vcc_lo
	v_add_co_ci_u32_e32 v9, vcc_lo, 0, v9, vcc_lo
	s_or_b32 vcc_lo, s2, s1
	v_add_co_ci_u32_e32 v7, vcc_lo, 0, v7, vcc_lo
	v_cmp_gt_i32_e32 vcc_lo, 31, v8
	v_cndmask_b32_e32 v9, 0x7c00, v9, vcc_lo
	v_cmp_gt_i32_e32 vcc_lo, 31, v10
	v_cndmask_b32_e32 v7, 0x7c00, v7, vcc_lo
	v_cmp_eq_u32_e32 vcc_lo, 0x40f, v8
	v_cndmask_b32_e32 v3, v9, v3, vcc_lo
	v_cmp_eq_u32_e32 vcc_lo, 0x40f, v10
	v_and_or_b32 v3, 0x8000, v4, v3
	v_cndmask_b32_e32 v5, v7, v5, vcc_lo
	v_add_co_u32 v0, vcc_lo, v0, s6
	v_add_co_ci_u32_e32 v1, vcc_lo, s7, v1, vcc_lo
	v_and_or_b32 v4, 0x8000, v6, v5
	v_and_b32_e32 v3, 0xffff, v3
	v_lshl_or_b32 v3, v4, 16, v3
	global_store_dword v[0:1], v3, off
	global_load_dword v5, v[17:18], off offset:616
	v_add_nc_u32_e32 v3, 0xa00, v68
	ds_read2_b32 v[3:4], v3 offset0:26 offset1:170
	s_waitcnt lgkmcnt(0)
	v_lshrrev_b32_e32 v6, 16, v3
	s_waitcnt vmcnt(0)
	v_mul_f16_sdwa v7, v6, v5 dst_sel:DWORD dst_unused:UNUSED_PAD src0_sel:DWORD src1_sel:WORD_1
	v_mul_f16_sdwa v8, v3, v5 dst_sel:DWORD dst_unused:UNUSED_PAD src0_sel:DWORD src1_sel:WORD_1
	v_fmac_f16_e32 v7, v3, v5
	v_fma_f16 v3, v5, v6, -v8
	v_cvt_f32_f16_e32 v5, v7
	v_cvt_f32_f16_e32 v3, v3
	v_cvt_f64_f32_e32 v[5:6], v5
	v_cvt_f64_f32_e32 v[7:8], v3
	v_mul_f64 v[5:6], v[5:6], s[4:5]
	v_mul_f64 v[7:8], v[7:8], s[4:5]
	v_and_or_b32 v3, 0x1ff, v6, v5
	v_and_or_b32 v7, 0x1ff, v8, v7
	v_lshrrev_b32_e32 v5, 8, v6
	v_bfe_u32 v9, v6, 20, 11
	v_lshrrev_b32_e32 v10, 8, v8
	v_cmp_ne_u32_e32 vcc_lo, 0, v3
	v_bfe_u32 v11, v8, 20, 11
	v_lshrrev_b32_e32 v6, 16, v6
	v_sub_nc_u32_e32 v12, 0x3f1, v9
	v_add_nc_u32_e32 v9, 0xfffffc10, v9
	v_cndmask_b32_e64 v3, 0, 1, vcc_lo
	v_cmp_ne_u32_e32 vcc_lo, 0, v7
	v_lshrrev_b32_e32 v8, 16, v8
	v_and_or_b32 v3, 0xffe, v5, v3
	v_cndmask_b32_e64 v7, 0, 1, vcc_lo
	v_sub_nc_u32_e32 v5, 0x3f1, v11
	v_add_nc_u32_e32 v11, 0xfffffc10, v11
	v_and_or_b32 v7, 0xffe, v10, v7
	v_med3_i32 v10, v12, 0, 13
	v_or_b32_e32 v12, 0x1000, v3
	v_med3_i32 v5, v5, 0, 13
	v_or_b32_e32 v13, 0x1000, v7
	v_lshrrev_b32_e32 v14, v10, v12
	v_lshrrev_b32_e32 v19, v5, v13
	v_lshlrev_b32_e32 v10, v10, v14
	v_lshlrev_b32_e32 v5, v5, v19
	v_cmp_ne_u32_e32 vcc_lo, v10, v12
	v_lshl_or_b32 v12, v9, 12, v3
	v_cndmask_b32_e64 v10, 0, 1, vcc_lo
	v_cmp_ne_u32_e32 vcc_lo, v5, v13
	v_lshl_or_b32 v13, v11, 12, v7
	v_or_b32_e32 v10, v14, v10
	v_cndmask_b32_e64 v5, 0, 1, vcc_lo
	v_cmp_gt_i32_e32 vcc_lo, 1, v9
	v_or_b32_e32 v5, v19, v5
	v_cndmask_b32_e32 v10, v12, v10, vcc_lo
	v_cmp_gt_i32_e32 vcc_lo, 1, v11
	v_and_b32_e32 v12, 7, v10
	v_cndmask_b32_e32 v5, v13, v5, vcc_lo
	v_cmp_ne_u32_e32 vcc_lo, 0, v3
	v_lshrrev_b32_e32 v10, 2, v10
	v_cmp_eq_u32_e64 s0, 3, v12
	v_and_b32_e32 v13, 7, v5
	v_cndmask_b32_e64 v3, 0, 1, vcc_lo
	v_cmp_ne_u32_e32 vcc_lo, 0, v7
	v_lshrrev_b32_e32 v5, 2, v5
	v_cmp_lt_i32_e64 s1, 5, v13
	v_cmp_eq_u32_e64 s2, 3, v13
	v_cndmask_b32_e64 v7, 0, 1, vcc_lo
	v_cmp_lt_i32_e32 vcc_lo, 5, v12
	v_lshl_or_b32 v3, v3, 9, 0x7c00
	v_lshl_or_b32 v7, v7, 9, 0x7c00
	s_or_b32 vcc_lo, s0, vcc_lo
	v_add_co_ci_u32_e32 v10, vcc_lo, 0, v10, vcc_lo
	s_or_b32 vcc_lo, s2, s1
	v_add_co_ci_u32_e32 v5, vcc_lo, 0, v5, vcc_lo
	v_cmp_gt_i32_e32 vcc_lo, 31, v9
	v_cndmask_b32_e32 v10, 0x7c00, v10, vcc_lo
	v_cmp_gt_i32_e32 vcc_lo, 31, v11
	v_cndmask_b32_e32 v5, 0x7c00, v5, vcc_lo
	v_cmp_eq_u32_e32 vcc_lo, 0x40f, v9
	v_cndmask_b32_e32 v3, v10, v3, vcc_lo
	v_cmp_eq_u32_e32 vcc_lo, 0x40f, v11
	v_and_or_b32 v3, 0x8000, v6, v3
	v_cndmask_b32_e32 v5, v5, v7, vcc_lo
	v_add_co_u32 v0, vcc_lo, v0, s6
	v_add_co_ci_u32_e32 v1, vcc_lo, s7, v1, vcc_lo
	v_and_or_b32 v5, 0x8000, v8, v5
	v_and_b32_e32 v3, 0xffff, v3
	v_lshl_or_b32 v3, v5, 16, v3
	v_lshrrev_b32_e32 v5, 16, v4
	global_store_dword v[0:1], v3, off
	global_load_dword v3, v[17:18], off offset:1192
	s_waitcnt vmcnt(0)
	v_mul_f16_sdwa v6, v5, v3 dst_sel:DWORD dst_unused:UNUSED_PAD src0_sel:DWORD src1_sel:WORD_1
	v_mul_f16_sdwa v7, v4, v3 dst_sel:DWORD dst_unused:UNUSED_PAD src0_sel:DWORD src1_sel:WORD_1
	v_fmac_f16_e32 v6, v4, v3
	v_fma_f16 v3, v3, v5, -v7
	v_cvt_f32_f16_e32 v4, v6
	v_cvt_f32_f16_e32 v5, v3
	v_cvt_f64_f32_e32 v[3:4], v4
	v_cvt_f64_f32_e32 v[5:6], v5
	v_mul_f64 v[3:4], v[3:4], s[4:5]
	v_mul_f64 v[5:6], v[5:6], s[4:5]
	v_and_or_b32 v3, 0x1ff, v4, v3
	v_and_or_b32 v5, 0x1ff, v6, v5
	v_lshrrev_b32_e32 v7, 8, v4
	v_bfe_u32 v8, v4, 20, 11
	v_lshrrev_b32_e32 v9, 8, v6
	v_cmp_ne_u32_e32 vcc_lo, 0, v3
	v_bfe_u32 v10, v6, 20, 11
	v_lshrrev_b32_e32 v4, 16, v4
	v_sub_nc_u32_e32 v11, 0x3f1, v8
	v_add_nc_u32_e32 v8, 0xfffffc10, v8
	v_cndmask_b32_e64 v3, 0, 1, vcc_lo
	v_cmp_ne_u32_e32 vcc_lo, 0, v5
	v_lshrrev_b32_e32 v6, 16, v6
	v_and_or_b32 v3, 0xffe, v7, v3
	v_cndmask_b32_e64 v5, 0, 1, vcc_lo
	v_sub_nc_u32_e32 v7, 0x3f1, v10
	v_add_nc_u32_e32 v10, 0xfffffc10, v10
	v_and_or_b32 v5, 0xffe, v9, v5
	v_med3_i32 v9, v11, 0, 13
	v_or_b32_e32 v11, 0x1000, v3
	v_med3_i32 v7, v7, 0, 13
	v_or_b32_e32 v12, 0x1000, v5
	v_lshrrev_b32_e32 v13, v9, v11
	v_lshrrev_b32_e32 v14, v7, v12
	v_lshlrev_b32_e32 v9, v9, v13
	v_lshlrev_b32_e32 v7, v7, v14
	v_cmp_ne_u32_e32 vcc_lo, v9, v11
	v_lshl_or_b32 v11, v8, 12, v3
	v_cndmask_b32_e64 v9, 0, 1, vcc_lo
	v_cmp_ne_u32_e32 vcc_lo, v7, v12
	v_lshl_or_b32 v12, v10, 12, v5
	v_or_b32_e32 v9, v13, v9
	v_cndmask_b32_e64 v7, 0, 1, vcc_lo
	v_cmp_gt_i32_e32 vcc_lo, 1, v8
	v_or_b32_e32 v7, v14, v7
	v_cndmask_b32_e32 v9, v11, v9, vcc_lo
	v_cmp_gt_i32_e32 vcc_lo, 1, v10
	v_and_b32_e32 v11, 7, v9
	v_cndmask_b32_e32 v7, v12, v7, vcc_lo
	v_cmp_ne_u32_e32 vcc_lo, 0, v3
	v_lshrrev_b32_e32 v9, 2, v9
	v_cmp_eq_u32_e64 s0, 3, v11
	v_and_b32_e32 v12, 7, v7
	v_cndmask_b32_e64 v3, 0, 1, vcc_lo
	v_cmp_ne_u32_e32 vcc_lo, 0, v5
	v_lshrrev_b32_e32 v7, 2, v7
	v_cmp_lt_i32_e64 s1, 5, v12
	v_cmp_eq_u32_e64 s2, 3, v12
	v_cndmask_b32_e64 v5, 0, 1, vcc_lo
	v_cmp_lt_i32_e32 vcc_lo, 5, v11
	v_lshl_or_b32 v3, v3, 9, 0x7c00
	v_lshl_or_b32 v5, v5, 9, 0x7c00
	s_or_b32 vcc_lo, s0, vcc_lo
	v_add_co_ci_u32_e32 v9, vcc_lo, 0, v9, vcc_lo
	s_or_b32 vcc_lo, s2, s1
	v_add_co_ci_u32_e32 v7, vcc_lo, 0, v7, vcc_lo
	v_cmp_gt_i32_e32 vcc_lo, 31, v8
	v_cndmask_b32_e32 v9, 0x7c00, v9, vcc_lo
	v_cmp_gt_i32_e32 vcc_lo, 31, v10
	v_cndmask_b32_e32 v7, 0x7c00, v7, vcc_lo
	v_cmp_eq_u32_e32 vcc_lo, 0x40f, v8
	v_cndmask_b32_e32 v3, v9, v3, vcc_lo
	v_cmp_eq_u32_e32 vcc_lo, 0x40f, v10
	v_and_or_b32 v3, 0x8000, v4, v3
	v_cndmask_b32_e32 v5, v7, v5, vcc_lo
	v_add_co_u32 v0, vcc_lo, v0, s6
	v_add_co_ci_u32_e32 v1, vcc_lo, s7, v1, vcc_lo
	v_and_or_b32 v4, 0x8000, v6, v5
	v_and_b32_e32 v3, 0xffff, v3
	v_lshl_or_b32 v3, v4, 16, v3
	global_store_dword v[0:1], v3, off
	global_load_dword v5, v[17:18], off offset:1768
	v_add_nc_u32_e32 v3, 0xe00, v68
	ds_read2_b32 v[3:4], v3 offset0:58 offset1:202
	s_waitcnt lgkmcnt(0)
	v_lshrrev_b32_e32 v6, 16, v3
	s_waitcnt vmcnt(0)
	v_mul_f16_sdwa v7, v6, v5 dst_sel:DWORD dst_unused:UNUSED_PAD src0_sel:DWORD src1_sel:WORD_1
	v_mul_f16_sdwa v8, v3, v5 dst_sel:DWORD dst_unused:UNUSED_PAD src0_sel:DWORD src1_sel:WORD_1
	v_fmac_f16_e32 v7, v3, v5
	v_fma_f16 v3, v5, v6, -v8
	v_cvt_f32_f16_e32 v5, v7
	v_cvt_f32_f16_e32 v3, v3
	v_cvt_f64_f32_e32 v[5:6], v5
	v_cvt_f64_f32_e32 v[7:8], v3
	v_mul_f64 v[5:6], v[5:6], s[4:5]
	v_mul_f64 v[7:8], v[7:8], s[4:5]
	v_and_or_b32 v3, 0x1ff, v6, v5
	v_and_or_b32 v7, 0x1ff, v8, v7
	v_lshrrev_b32_e32 v5, 8, v6
	v_bfe_u32 v9, v6, 20, 11
	v_lshrrev_b32_e32 v10, 8, v8
	v_cmp_ne_u32_e32 vcc_lo, 0, v3
	v_bfe_u32 v11, v8, 20, 11
	v_lshrrev_b32_e32 v6, 16, v6
	v_sub_nc_u32_e32 v12, 0x3f1, v9
	v_add_nc_u32_e32 v9, 0xfffffc10, v9
	v_cndmask_b32_e64 v3, 0, 1, vcc_lo
	v_cmp_ne_u32_e32 vcc_lo, 0, v7
	v_lshrrev_b32_e32 v8, 16, v8
	v_and_or_b32 v3, 0xffe, v5, v3
	v_cndmask_b32_e64 v7, 0, 1, vcc_lo
	v_sub_nc_u32_e32 v5, 0x3f1, v11
	v_add_nc_u32_e32 v11, 0xfffffc10, v11
	v_and_or_b32 v7, 0xffe, v10, v7
	v_med3_i32 v10, v12, 0, 13
	v_or_b32_e32 v12, 0x1000, v3
	v_med3_i32 v5, v5, 0, 13
	v_or_b32_e32 v13, 0x1000, v7
	v_lshrrev_b32_e32 v14, v10, v12
	v_lshrrev_b32_e32 v17, v5, v13
	v_lshlrev_b32_e32 v10, v10, v14
	v_lshlrev_b32_e32 v5, v5, v17
	v_cmp_ne_u32_e32 vcc_lo, v10, v12
	v_lshl_or_b32 v12, v9, 12, v3
	v_cndmask_b32_e64 v10, 0, 1, vcc_lo
	v_cmp_ne_u32_e32 vcc_lo, v5, v13
	v_lshl_or_b32 v13, v11, 12, v7
	v_or_b32_e32 v10, v14, v10
	v_cndmask_b32_e64 v5, 0, 1, vcc_lo
	v_cmp_gt_i32_e32 vcc_lo, 1, v9
	v_or_b32_e32 v5, v17, v5
	v_cndmask_b32_e32 v10, v12, v10, vcc_lo
	v_cmp_gt_i32_e32 vcc_lo, 1, v11
	v_and_b32_e32 v12, 7, v10
	v_cndmask_b32_e32 v5, v13, v5, vcc_lo
	v_cmp_ne_u32_e32 vcc_lo, 0, v3
	v_lshrrev_b32_e32 v10, 2, v10
	v_cmp_eq_u32_e64 s0, 3, v12
	v_and_b32_e32 v13, 7, v5
	v_cndmask_b32_e64 v3, 0, 1, vcc_lo
	v_cmp_ne_u32_e32 vcc_lo, 0, v7
	v_lshrrev_b32_e32 v5, 2, v5
	v_cmp_lt_i32_e64 s1, 5, v13
	v_cmp_eq_u32_e64 s2, 3, v13
	v_cndmask_b32_e64 v7, 0, 1, vcc_lo
	v_cmp_lt_i32_e32 vcc_lo, 5, v12
	v_lshl_or_b32 v3, v3, 9, 0x7c00
	v_lshl_or_b32 v7, v7, 9, 0x7c00
	s_or_b32 vcc_lo, s0, vcc_lo
	v_add_co_ci_u32_e32 v10, vcc_lo, 0, v10, vcc_lo
	s_or_b32 vcc_lo, s2, s1
	v_add_co_ci_u32_e32 v5, vcc_lo, 0, v5, vcc_lo
	v_cmp_gt_i32_e32 vcc_lo, 31, v9
	v_cndmask_b32_e32 v10, 0x7c00, v10, vcc_lo
	v_cmp_gt_i32_e32 vcc_lo, 31, v11
	v_cndmask_b32_e32 v5, 0x7c00, v5, vcc_lo
	v_cmp_eq_u32_e32 vcc_lo, 0x40f, v9
	v_cndmask_b32_e32 v3, v10, v3, vcc_lo
	v_cmp_eq_u32_e32 vcc_lo, 0x40f, v11
	v_and_or_b32 v3, 0x8000, v6, v3
	v_cndmask_b32_e32 v5, v5, v7, vcc_lo
	v_add_co_u32 v0, vcc_lo, v0, s6
	v_add_co_ci_u32_e32 v1, vcc_lo, s7, v1, vcc_lo
	v_and_or_b32 v5, 0x8000, v8, v5
	v_and_b32_e32 v3, 0xffff, v3
	v_lshl_or_b32 v3, v5, 16, v3
	v_lshrrev_b32_e32 v5, 16, v4
	global_store_dword v[0:1], v3, off
	global_load_dword v3, v[15:16], off offset:296
	s_waitcnt vmcnt(0)
	v_mul_f16_sdwa v6, v5, v3 dst_sel:DWORD dst_unused:UNUSED_PAD src0_sel:DWORD src1_sel:WORD_1
	v_mul_f16_sdwa v7, v4, v3 dst_sel:DWORD dst_unused:UNUSED_PAD src0_sel:DWORD src1_sel:WORD_1
	v_fmac_f16_e32 v6, v4, v3
	v_fma_f16 v3, v3, v5, -v7
	v_cvt_f32_f16_e32 v4, v6
	v_cvt_f32_f16_e32 v5, v3
	v_cvt_f64_f32_e32 v[3:4], v4
	v_cvt_f64_f32_e32 v[5:6], v5
	v_mul_f64 v[3:4], v[3:4], s[4:5]
	v_mul_f64 v[5:6], v[5:6], s[4:5]
	v_and_or_b32 v3, 0x1ff, v4, v3
	v_and_or_b32 v5, 0x1ff, v6, v5
	v_lshrrev_b32_e32 v7, 8, v4
	v_bfe_u32 v8, v4, 20, 11
	v_lshrrev_b32_e32 v9, 8, v6
	v_cmp_ne_u32_e32 vcc_lo, 0, v3
	v_bfe_u32 v10, v6, 20, 11
	v_lshrrev_b32_e32 v4, 16, v4
	v_sub_nc_u32_e32 v11, 0x3f1, v8
	v_add_nc_u32_e32 v8, 0xfffffc10, v8
	v_cndmask_b32_e64 v3, 0, 1, vcc_lo
	v_cmp_ne_u32_e32 vcc_lo, 0, v5
	v_lshrrev_b32_e32 v6, 16, v6
	v_and_or_b32 v3, 0xffe, v7, v3
	v_cndmask_b32_e64 v5, 0, 1, vcc_lo
	v_sub_nc_u32_e32 v7, 0x3f1, v10
	v_add_nc_u32_e32 v10, 0xfffffc10, v10
	v_and_or_b32 v5, 0xffe, v9, v5
	v_med3_i32 v9, v11, 0, 13
	v_or_b32_e32 v11, 0x1000, v3
	v_med3_i32 v7, v7, 0, 13
	v_or_b32_e32 v12, 0x1000, v5
	v_lshrrev_b32_e32 v13, v9, v11
	v_lshrrev_b32_e32 v14, v7, v12
	v_lshlrev_b32_e32 v9, v9, v13
	v_lshlrev_b32_e32 v7, v7, v14
	v_cmp_ne_u32_e32 vcc_lo, v9, v11
	v_lshl_or_b32 v11, v8, 12, v3
	v_cndmask_b32_e64 v9, 0, 1, vcc_lo
	v_cmp_ne_u32_e32 vcc_lo, v7, v12
	v_lshl_or_b32 v12, v10, 12, v5
	v_or_b32_e32 v9, v13, v9
	v_cndmask_b32_e64 v7, 0, 1, vcc_lo
	v_cmp_gt_i32_e32 vcc_lo, 1, v8
	v_or_b32_e32 v7, v14, v7
	v_cndmask_b32_e32 v9, v11, v9, vcc_lo
	v_cmp_gt_i32_e32 vcc_lo, 1, v10
	v_and_b32_e32 v11, 7, v9
	v_cndmask_b32_e32 v7, v12, v7, vcc_lo
	v_cmp_ne_u32_e32 vcc_lo, 0, v3
	v_lshrrev_b32_e32 v9, 2, v9
	v_cmp_eq_u32_e64 s0, 3, v11
	v_and_b32_e32 v12, 7, v7
	v_cndmask_b32_e64 v3, 0, 1, vcc_lo
	v_cmp_ne_u32_e32 vcc_lo, 0, v5
	v_lshrrev_b32_e32 v7, 2, v7
	v_cmp_lt_i32_e64 s1, 5, v12
	v_cmp_eq_u32_e64 s2, 3, v12
	v_cndmask_b32_e64 v5, 0, 1, vcc_lo
	v_cmp_lt_i32_e32 vcc_lo, 5, v11
	v_lshl_or_b32 v3, v3, 9, 0x7c00
	v_lshl_or_b32 v5, v5, 9, 0x7c00
	s_or_b32 vcc_lo, s0, vcc_lo
	v_add_co_ci_u32_e32 v9, vcc_lo, 0, v9, vcc_lo
	s_or_b32 vcc_lo, s2, s1
	v_add_co_ci_u32_e32 v7, vcc_lo, 0, v7, vcc_lo
	v_cmp_gt_i32_e32 vcc_lo, 31, v8
	v_cndmask_b32_e32 v9, 0x7c00, v9, vcc_lo
	v_cmp_gt_i32_e32 vcc_lo, 31, v10
	v_cndmask_b32_e32 v7, 0x7c00, v7, vcc_lo
	v_cmp_eq_u32_e32 vcc_lo, 0x40f, v8
	v_cndmask_b32_e32 v3, v9, v3, vcc_lo
	v_cmp_eq_u32_e32 vcc_lo, 0x40f, v10
	v_and_or_b32 v3, 0x8000, v4, v3
	v_cndmask_b32_e32 v5, v7, v5, vcc_lo
	v_add_co_u32 v0, vcc_lo, v0, s6
	v_add_co_ci_u32_e32 v1, vcc_lo, s7, v1, vcc_lo
	v_and_or_b32 v4, 0x8000, v6, v5
	v_and_b32_e32 v3, 0xffff, v3
	v_lshl_or_b32 v3, v4, 16, v3
	global_store_dword v[0:1], v3, off
	global_load_dword v4, v[15:16], off offset:872
	ds_read2_b32 v[2:3], v2 offset0:90 offset1:234
	s_waitcnt lgkmcnt(0)
	v_lshrrev_b32_e32 v5, 16, v2
	s_waitcnt vmcnt(0)
	v_mul_f16_sdwa v6, v5, v4 dst_sel:DWORD dst_unused:UNUSED_PAD src0_sel:DWORD src1_sel:WORD_1
	v_mul_f16_sdwa v7, v2, v4 dst_sel:DWORD dst_unused:UNUSED_PAD src0_sel:DWORD src1_sel:WORD_1
	v_fmac_f16_e32 v6, v2, v4
	v_fma_f16 v2, v4, v5, -v7
	v_cvt_f32_f16_e32 v4, v6
	v_cvt_f32_f16_e32 v2, v2
	v_cvt_f64_f32_e32 v[4:5], v4
	v_cvt_f64_f32_e32 v[6:7], v2
	v_mul_f64 v[4:5], v[4:5], s[4:5]
	v_mul_f64 v[6:7], v[6:7], s[4:5]
	v_and_or_b32 v2, 0x1ff, v5, v4
	v_and_or_b32 v6, 0x1ff, v7, v6
	v_lshrrev_b32_e32 v4, 8, v5
	v_bfe_u32 v8, v5, 20, 11
	v_lshrrev_b32_e32 v9, 8, v7
	v_cmp_ne_u32_e32 vcc_lo, 0, v2
	v_bfe_u32 v10, v7, 20, 11
	v_lshrrev_b32_e32 v5, 16, v5
	v_sub_nc_u32_e32 v11, 0x3f1, v8
	v_add_nc_u32_e32 v8, 0xfffffc10, v8
	v_cndmask_b32_e64 v2, 0, 1, vcc_lo
	v_cmp_ne_u32_e32 vcc_lo, 0, v6
	v_lshrrev_b32_e32 v7, 16, v7
	v_and_or_b32 v2, 0xffe, v4, v2
	v_cndmask_b32_e64 v6, 0, 1, vcc_lo
	v_sub_nc_u32_e32 v4, 0x3f1, v10
	v_add_nc_u32_e32 v10, 0xfffffc10, v10
	v_and_or_b32 v6, 0xffe, v9, v6
	v_med3_i32 v9, v11, 0, 13
	v_or_b32_e32 v11, 0x1000, v2
	v_med3_i32 v4, v4, 0, 13
	v_or_b32_e32 v12, 0x1000, v6
	v_lshrrev_b32_e32 v13, v9, v11
	v_lshrrev_b32_e32 v14, v4, v12
	v_lshlrev_b32_e32 v9, v9, v13
	v_lshlrev_b32_e32 v4, v4, v14
	v_cmp_ne_u32_e32 vcc_lo, v9, v11
	v_lshl_or_b32 v11, v8, 12, v2
	v_cndmask_b32_e64 v9, 0, 1, vcc_lo
	v_cmp_ne_u32_e32 vcc_lo, v4, v12
	v_lshl_or_b32 v12, v10, 12, v6
	v_or_b32_e32 v9, v13, v9
	v_cndmask_b32_e64 v4, 0, 1, vcc_lo
	v_cmp_gt_i32_e32 vcc_lo, 1, v8
	v_or_b32_e32 v4, v14, v4
	v_cndmask_b32_e32 v9, v11, v9, vcc_lo
	v_cmp_gt_i32_e32 vcc_lo, 1, v10
	v_and_b32_e32 v11, 7, v9
	v_cndmask_b32_e32 v4, v12, v4, vcc_lo
	v_cmp_ne_u32_e32 vcc_lo, 0, v2
	v_lshrrev_b32_e32 v9, 2, v9
	v_cmp_eq_u32_e64 s0, 3, v11
	v_and_b32_e32 v12, 7, v4
	v_cndmask_b32_e64 v2, 0, 1, vcc_lo
	v_cmp_ne_u32_e32 vcc_lo, 0, v6
	v_lshrrev_b32_e32 v4, 2, v4
	v_cmp_lt_i32_e64 s1, 5, v12
	v_cmp_eq_u32_e64 s2, 3, v12
	v_cndmask_b32_e64 v6, 0, 1, vcc_lo
	v_cmp_lt_i32_e32 vcc_lo, 5, v11
	v_lshl_or_b32 v2, v2, 9, 0x7c00
	v_lshl_or_b32 v6, v6, 9, 0x7c00
	s_or_b32 vcc_lo, s0, vcc_lo
	v_add_co_ci_u32_e32 v9, vcc_lo, 0, v9, vcc_lo
	s_or_b32 vcc_lo, s2, s1
	v_add_co_ci_u32_e32 v4, vcc_lo, 0, v4, vcc_lo
	v_cmp_gt_i32_e32 vcc_lo, 31, v8
	v_cndmask_b32_e32 v9, 0x7c00, v9, vcc_lo
	v_cmp_gt_i32_e32 vcc_lo, 31, v10
	v_cndmask_b32_e32 v4, 0x7c00, v4, vcc_lo
	v_cmp_eq_u32_e32 vcc_lo, 0x40f, v8
	v_cndmask_b32_e32 v2, v9, v2, vcc_lo
	v_cmp_eq_u32_e32 vcc_lo, 0x40f, v10
	v_and_or_b32 v2, 0x8000, v5, v2
	v_cndmask_b32_e32 v4, v4, v6, vcc_lo
	v_add_co_u32 v0, vcc_lo, v0, s6
	v_add_co_ci_u32_e32 v1, vcc_lo, s7, v1, vcc_lo
	v_and_or_b32 v4, 0x8000, v7, v4
	v_and_b32_e32 v2, 0xffff, v2
	v_lshl_or_b32 v2, v4, 16, v2
	v_lshrrev_b32_e32 v4, 16, v3
	global_store_dword v[0:1], v2, off
	global_load_dword v2, v[15:16], off offset:1448
	s_waitcnt vmcnt(0)
	v_mul_f16_sdwa v5, v4, v2 dst_sel:DWORD dst_unused:UNUSED_PAD src0_sel:DWORD src1_sel:WORD_1
	v_mul_f16_sdwa v6, v3, v2 dst_sel:DWORD dst_unused:UNUSED_PAD src0_sel:DWORD src1_sel:WORD_1
	v_fmac_f16_e32 v5, v3, v2
	v_fma_f16 v2, v2, v4, -v6
	v_cvt_f32_f16_e32 v3, v5
	v_cvt_f32_f16_e32 v4, v2
	v_cvt_f64_f32_e32 v[2:3], v3
	v_cvt_f64_f32_e32 v[4:5], v4
	v_mul_f64 v[2:3], v[2:3], s[4:5]
	v_mul_f64 v[4:5], v[4:5], s[4:5]
	v_and_or_b32 v2, 0x1ff, v3, v2
	v_and_or_b32 v4, 0x1ff, v5, v4
	v_lshrrev_b32_e32 v6, 8, v3
	v_bfe_u32 v7, v3, 20, 11
	v_lshrrev_b32_e32 v8, 8, v5
	v_cmp_ne_u32_e32 vcc_lo, 0, v2
	v_bfe_u32 v9, v5, 20, 11
	v_lshrrev_b32_e32 v3, 16, v3
	v_sub_nc_u32_e32 v10, 0x3f1, v7
	v_add_nc_u32_e32 v7, 0xfffffc10, v7
	v_cndmask_b32_e64 v2, 0, 1, vcc_lo
	v_cmp_ne_u32_e32 vcc_lo, 0, v4
	v_lshrrev_b32_e32 v5, 16, v5
	v_and_or_b32 v2, 0xffe, v6, v2
	v_cndmask_b32_e64 v4, 0, 1, vcc_lo
	v_sub_nc_u32_e32 v6, 0x3f1, v9
	v_add_nc_u32_e32 v9, 0xfffffc10, v9
	v_and_or_b32 v4, 0xffe, v8, v4
	v_med3_i32 v8, v10, 0, 13
	v_or_b32_e32 v10, 0x1000, v2
	v_med3_i32 v6, v6, 0, 13
	v_or_b32_e32 v11, 0x1000, v4
	v_lshrrev_b32_e32 v12, v8, v10
	v_lshrrev_b32_e32 v13, v6, v11
	v_lshlrev_b32_e32 v8, v8, v12
	v_lshlrev_b32_e32 v6, v6, v13
	v_cmp_ne_u32_e32 vcc_lo, v8, v10
	v_lshl_or_b32 v10, v7, 12, v2
	v_cndmask_b32_e64 v8, 0, 1, vcc_lo
	v_cmp_ne_u32_e32 vcc_lo, v6, v11
	v_lshl_or_b32 v11, v9, 12, v4
	v_or_b32_e32 v8, v12, v8
	v_cndmask_b32_e64 v6, 0, 1, vcc_lo
	v_cmp_gt_i32_e32 vcc_lo, 1, v7
	v_or_b32_e32 v6, v13, v6
	v_cndmask_b32_e32 v8, v10, v8, vcc_lo
	v_cmp_gt_i32_e32 vcc_lo, 1, v9
	v_and_b32_e32 v10, 7, v8
	v_cndmask_b32_e32 v6, v11, v6, vcc_lo
	v_cmp_ne_u32_e32 vcc_lo, 0, v2
	v_lshrrev_b32_e32 v8, 2, v8
	v_cmp_eq_u32_e64 s0, 3, v10
	v_and_b32_e32 v11, 7, v6
	v_cndmask_b32_e64 v2, 0, 1, vcc_lo
	v_cmp_ne_u32_e32 vcc_lo, 0, v4
	v_lshrrev_b32_e32 v6, 2, v6
	v_cmp_lt_i32_e64 s1, 5, v11
	v_cmp_eq_u32_e64 s2, 3, v11
	v_cndmask_b32_e64 v4, 0, 1, vcc_lo
	v_cmp_lt_i32_e32 vcc_lo, 5, v10
	v_lshl_or_b32 v2, v2, 9, 0x7c00
	v_lshl_or_b32 v4, v4, 9, 0x7c00
	s_or_b32 vcc_lo, s0, vcc_lo
	v_add_co_ci_u32_e32 v8, vcc_lo, 0, v8, vcc_lo
	s_or_b32 vcc_lo, s2, s1
	v_add_co_ci_u32_e32 v6, vcc_lo, 0, v6, vcc_lo
	v_cmp_gt_i32_e32 vcc_lo, 31, v7
	v_cndmask_b32_e32 v8, 0x7c00, v8, vcc_lo
	v_cmp_gt_i32_e32 vcc_lo, 31, v9
	v_cndmask_b32_e32 v6, 0x7c00, v6, vcc_lo
	v_cmp_eq_u32_e32 vcc_lo, 0x40f, v7
	v_cndmask_b32_e32 v2, v8, v2, vcc_lo
	v_cmp_eq_u32_e32 vcc_lo, 0x40f, v9
	v_and_or_b32 v2, 0x8000, v3, v2
	v_cndmask_b32_e32 v4, v6, v4, vcc_lo
	v_add_co_u32 v0, vcc_lo, v0, s6
	v_add_co_ci_u32_e32 v1, vcc_lo, s7, v1, vcc_lo
	v_and_or_b32 v3, 0x8000, v5, v4
	v_and_b32_e32 v2, 0xffff, v2
	v_lshl_or_b32 v2, v3, 16, v2
	global_store_dword v[0:1], v2, off
.LBB0_31:
	s_endpgm
	.section	.rodata,"a",@progbits
	.p2align	6, 0x0
	.amdhsa_kernel bluestein_single_back_len1440_dim1_half_op_CI_CI
		.amdhsa_group_segment_fixed_size 5760
		.amdhsa_private_segment_fixed_size 0
		.amdhsa_kernarg_size 104
		.amdhsa_user_sgpr_count 6
		.amdhsa_user_sgpr_private_segment_buffer 1
		.amdhsa_user_sgpr_dispatch_ptr 0
		.amdhsa_user_sgpr_queue_ptr 0
		.amdhsa_user_sgpr_kernarg_segment_ptr 1
		.amdhsa_user_sgpr_dispatch_id 0
		.amdhsa_user_sgpr_flat_scratch_init 0
		.amdhsa_user_sgpr_private_segment_size 0
		.amdhsa_wavefront_size32 1
		.amdhsa_uses_dynamic_stack 0
		.amdhsa_system_sgpr_private_segment_wavefront_offset 0
		.amdhsa_system_sgpr_workgroup_id_x 1
		.amdhsa_system_sgpr_workgroup_id_y 0
		.amdhsa_system_sgpr_workgroup_id_z 0
		.amdhsa_system_sgpr_workgroup_info 0
		.amdhsa_system_vgpr_workitem_id 0
		.amdhsa_next_free_vgpr 145
		.amdhsa_next_free_sgpr 16
		.amdhsa_reserve_vcc 1
		.amdhsa_reserve_flat_scratch 0
		.amdhsa_float_round_mode_32 0
		.amdhsa_float_round_mode_16_64 0
		.amdhsa_float_denorm_mode_32 3
		.amdhsa_float_denorm_mode_16_64 3
		.amdhsa_dx10_clamp 1
		.amdhsa_ieee_mode 1
		.amdhsa_fp16_overflow 0
		.amdhsa_workgroup_processor_mode 1
		.amdhsa_memory_ordered 1
		.amdhsa_forward_progress 0
		.amdhsa_shared_vgpr_count 0
		.amdhsa_exception_fp_ieee_invalid_op 0
		.amdhsa_exception_fp_denorm_src 0
		.amdhsa_exception_fp_ieee_div_zero 0
		.amdhsa_exception_fp_ieee_overflow 0
		.amdhsa_exception_fp_ieee_underflow 0
		.amdhsa_exception_fp_ieee_inexact 0
		.amdhsa_exception_int_div_zero 0
	.end_amdhsa_kernel
	.text
.Lfunc_end0:
	.size	bluestein_single_back_len1440_dim1_half_op_CI_CI, .Lfunc_end0-bluestein_single_back_len1440_dim1_half_op_CI_CI
                                        ; -- End function
	.section	.AMDGPU.csdata,"",@progbits
; Kernel info:
; codeLenInByte = 29828
; NumSgprs: 18
; NumVgprs: 145
; ScratchSize: 0
; MemoryBound: 0
; FloatMode: 240
; IeeeMode: 1
; LDSByteSize: 5760 bytes/workgroup (compile time only)
; SGPRBlocks: 2
; VGPRBlocks: 18
; NumSGPRsForWavesPerEU: 18
; NumVGPRsForWavesPerEU: 145
; Occupancy: 6
; WaveLimiterHint : 1
; COMPUTE_PGM_RSRC2:SCRATCH_EN: 0
; COMPUTE_PGM_RSRC2:USER_SGPR: 6
; COMPUTE_PGM_RSRC2:TRAP_HANDLER: 0
; COMPUTE_PGM_RSRC2:TGID_X_EN: 1
; COMPUTE_PGM_RSRC2:TGID_Y_EN: 0
; COMPUTE_PGM_RSRC2:TGID_Z_EN: 0
; COMPUTE_PGM_RSRC2:TIDIG_COMP_CNT: 0
	.text
	.p2alignl 6, 3214868480
	.fill 48, 4, 3214868480
	.type	__hip_cuid_b357694689ad139a,@object ; @__hip_cuid_b357694689ad139a
	.section	.bss,"aw",@nobits
	.globl	__hip_cuid_b357694689ad139a
__hip_cuid_b357694689ad139a:
	.byte	0                               ; 0x0
	.size	__hip_cuid_b357694689ad139a, 1

	.ident	"AMD clang version 19.0.0git (https://github.com/RadeonOpenCompute/llvm-project roc-6.4.0 25133 c7fe45cf4b819c5991fe208aaa96edf142730f1d)"
	.section	".note.GNU-stack","",@progbits
	.addrsig
	.addrsig_sym __hip_cuid_b357694689ad139a
	.amdgpu_metadata
---
amdhsa.kernels:
  - .args:
      - .actual_access:  read_only
        .address_space:  global
        .offset:         0
        .size:           8
        .value_kind:     global_buffer
      - .actual_access:  read_only
        .address_space:  global
        .offset:         8
        .size:           8
        .value_kind:     global_buffer
      - .actual_access:  read_only
        .address_space:  global
        .offset:         16
        .size:           8
        .value_kind:     global_buffer
      - .actual_access:  read_only
        .address_space:  global
        .offset:         24
        .size:           8
        .value_kind:     global_buffer
      - .actual_access:  read_only
        .address_space:  global
        .offset:         32
        .size:           8
        .value_kind:     global_buffer
      - .offset:         40
        .size:           8
        .value_kind:     by_value
      - .address_space:  global
        .offset:         48
        .size:           8
        .value_kind:     global_buffer
      - .address_space:  global
        .offset:         56
        .size:           8
        .value_kind:     global_buffer
      - .address_space:  global
        .offset:         64
        .size:           8
        .value_kind:     global_buffer
      - .address_space:  global
        .offset:         72
        .size:           8
        .value_kind:     global_buffer
      - .offset:         80
        .size:           4
        .value_kind:     by_value
      - .address_space:  global
        .offset:         88
        .size:           8
        .value_kind:     global_buffer
      - .address_space:  global
        .offset:         96
        .size:           8
        .value_kind:     global_buffer
    .group_segment_fixed_size: 5760
    .kernarg_segment_align: 8
    .kernarg_segment_size: 104
    .language:       OpenCL C
    .language_version:
      - 2
      - 0
    .max_flat_workgroup_size: 90
    .name:           bluestein_single_back_len1440_dim1_half_op_CI_CI
    .private_segment_fixed_size: 0
    .sgpr_count:     18
    .sgpr_spill_count: 0
    .symbol:         bluestein_single_back_len1440_dim1_half_op_CI_CI.kd
    .uniform_work_group_size: 1
    .uses_dynamic_stack: false
    .vgpr_count:     145
    .vgpr_spill_count: 0
    .wavefront_size: 32
    .workgroup_processor_mode: 1
amdhsa.target:   amdgcn-amd-amdhsa--gfx1030
amdhsa.version:
  - 1
  - 2
...

	.end_amdgpu_metadata
